;; amdgpu-corpus repo=ROCm/rocBLAS kind=compiled arch=gfx90a opt=O3
	.text
	.amdgcn_target "amdgcn-amd-amdhsa--gfx90a"
	.amdhsa_code_object_version 6
	.section	.text._ZL18rocblas_hpr_kernelILi64ELi16ELi2EPKfPK19rocblas_complex_numIfEPS3_EvbiT2_T3_lllT4_lli,"axG",@progbits,_ZL18rocblas_hpr_kernelILi64ELi16ELi2EPKfPK19rocblas_complex_numIfEPS3_EvbiT2_T3_lllT4_lli,comdat
	.globl	_ZL18rocblas_hpr_kernelILi64ELi16ELi2EPKfPK19rocblas_complex_numIfEPS3_EvbiT2_T3_lllT4_lli ; -- Begin function _ZL18rocblas_hpr_kernelILi64ELi16ELi2EPKfPK19rocblas_complex_numIfEPS3_EvbiT2_T3_lllT4_lli
	.p2align	8
	.type	_ZL18rocblas_hpr_kernelILi64ELi16ELi2EPKfPK19rocblas_complex_numIfEPS3_EvbiT2_T3_lllT4_lli,@function
_ZL18rocblas_hpr_kernelILi64ELi16ELi2EPKfPK19rocblas_complex_numIfEPS3_EvbiT2_T3_lllT4_lli: ; @_ZL18rocblas_hpr_kernelILi64ELi16ELi2EPKfPK19rocblas_complex_numIfEPS3_EvbiT2_T3_lllT4_lli
; %bb.0:
	s_load_dwordx16 s[12:27], s[4:5], 0x8
	s_waitcnt lgkmcnt(0)
	s_load_dword s12, s[12:13], 0x0
	s_waitcnt lgkmcnt(0)
	v_cmp_eq_f32_e64 s[0:1], s12, 0
	s_and_b64 vcc, exec, s[0:1]
	s_cbranch_vccnz .LBB0_22
; %bb.1:
	s_load_dwordx2 s[4:5], s[4:5], 0x0
	v_and_b32_e32 v1, 0x3ff, v0
	v_bfe_u32 v0, v0, 10, 10
	s_mov_b64 s[0:1], -1
	v_lshl_add_u32 v3, s6, 7, v1
	s_waitcnt lgkmcnt(0)
	s_bitcmp1_b32 s4, 0
	s_cselect_b64 s[2:3], -1, 0
	s_xor_b64 s[10:11], s[2:3], -1
	v_lshl_add_u32 v2, s7, 4, v0
	s_and_b64 vcc, exec, s[10:11]
	s_cbranch_vccz .LBB0_3
; %bb.2:
	s_lshl_b32 s0, s5, 1
	v_sub_u32_e32 v0, s0, v2
	v_mad_u64_u32 v[0:1], s[0:1], v2, v0, v[2:3]
	v_lshrrev_b32_e32 v1, 31, v0
	v_add_u32_e32 v0, v0, v1
	v_ashrrev_i32_e32 v0, 1, v0
	v_sub_u32_e32 v1, v3, v2
	v_add_u32_e32 v0, v1, v0
	s_cbranch_execz .LBB0_4
	s_branch .LBB0_5
.LBB0_3:
                                        ; implicit-def: $vgpr0
	s_andn2_b64 vcc, exec, s[0:1]
	s_cbranch_vccnz .LBB0_5
.LBB0_4:
	v_mad_u64_u32 v[0:1], s[0:1], v2, v2, v[2:3]
	v_lshrrev_b32_e32 v1, 31, v0
	v_add_u32_e32 v0, v0, v1
	v_ashrrev_i32_e32 v0, 1, v0
	v_add_u32_e32 v0, v0, v3
.LBB0_5:
	s_mul_i32 s0, s8, s21
	s_mul_hi_u32 s1, s8, s20
	s_add_i32 s1, s1, s0
	s_mul_i32 s0, s8, s20
	s_lshl_b64 s[0:1], s[0:1], 3
	s_add_u32 s2, s14, s0
	s_addc_u32 s3, s15, s1
	s_lshl_b64 s[0:1], s[16:17], 3
	s_add_u32 s13, s2, s0
	s_addc_u32 s14, s3, s1
	s_mul_i32 s0, s8, s27
	s_mul_hi_u32 s1, s8, s26
	s_add_i32 s1, s1, s0
	s_mul_i32 s0, s8, s26
	s_lshl_b64 s[0:1], s[0:1], 3
	s_add_u32 s2, s22, s0
	s_addc_u32 s3, s23, s1
	s_lshl_b64 s[0:1], s[24:25], 3
	s_add_u32 s4, s2, s0
	v_ashrrev_i32_e32 v1, 31, v2
	s_addc_u32 s15, s3, s1
	v_mul_lo_u32 v6, v2, s19
	v_mul_lo_u32 v1, v1, s18
	v_mad_u64_u32 v[4:5], s[2:3], v2, s18, 0
	v_add3_u32 v5, v5, v6, v1
	v_cmp_gt_i32_e64 s[0:1], s5, v2
	v_lshlrev_b64 v[4:5], 3, v[4:5]
	s_and_b64 vcc, exec, s[10:11]
	s_cbranch_vccz .LBB0_7
; %bb.6:
	v_cmp_le_i32_e32 vcc, s5, v3
	v_cmp_le_i32_e64 s[2:3], v3, v2
	s_or_b64 s[2:3], s[2:3], vcc
	s_mov_b64 s[6:7], -1
	s_and_b64 s[2:3], s[2:3], exec
	v_mov_b32_e32 v1, s14
	s_cbranch_execz .LBB0_8
	s_branch .LBB0_9
.LBB0_7:
	s_mov_b64 s[2:3], 0
	s_mov_b64 s[6:7], 0
	v_mov_b32_e32 v1, s14
.LBB0_8:
	v_cmp_lt_i32_e32 vcc, v3, v2
	s_and_b64 s[8:9], vcc, s[0:1]
	s_xor_b64 s[16:17], s[8:9], -1
	s_andn2_b64 s[6:7], s[6:7], exec
	s_and_b64 s[8:9], s[8:9], exec
	s_or_b64 s[6:7], s[6:7], s[8:9]
	s_andn2_b64 s[2:3], s[2:3], exec
	s_and_b64 s[8:9], s[16:17], exec
	s_or_b64 s[2:3], s[2:3], s[8:9]
.LBB0_9:
	v_add_co_u32_e32 v4, vcc, s13, v4
	v_addc_co_u32_e32 v5, vcc, v1, v5, vcc
	s_and_saveexec_b64 s[8:9], s[2:3]
	s_xor_b64 s[8:9], exec, s[8:9]
	s_cbranch_execz .LBB0_13
; %bb.10:
	v_cmp_eq_u32_e32 vcc, v3, v2
	v_cmp_gt_i32_e64 s[2:3], s5, v3
	s_and_b64 s[16:17], vcc, s[2:3]
	s_and_saveexec_b64 s[2:3], s[16:17]
	s_cbranch_execz .LBB0_12
; %bb.11:
	v_ashrrev_i32_e32 v8, 31, v3
	v_mul_lo_u32 v10, v3, s19
	v_mul_lo_u32 v11, v8, s18
	v_mad_u64_u32 v[8:9], s[16:17], v3, s18, 0
	v_add3_u32 v9, v9, v10, v11
	v_lshlrev_b64 v[8:9], 3, v[8:9]
	v_ashrrev_i32_e32 v1, 31, v0
	v_mov_b32_e32 v10, s14
	v_add_co_u32_e32 v8, vcc, s13, v8
	v_lshlrev_b64 v[6:7], 3, v[0:1]
	v_addc_co_u32_e32 v9, vcc, v10, v9, vcc
	v_mov_b32_e32 v1, s15
	global_load_dwordx2 v[8:9], v[8:9], off
	v_add_co_u32_e32 v6, vcc, s4, v6
	v_addc_co_u32_e32 v7, vcc, v1, v7, vcc
	global_load_dword v10, v[6:7], off
	v_mov_b32_e32 v11, 0
	s_waitcnt vmcnt(1)
	v_mul_f32_e32 v1, v9, v9
	v_fmac_f32_e32 v1, v8, v8
	s_waitcnt vmcnt(0)
	v_fmac_f32_e32 v10, s12, v1
	global_store_dwordx2 v[6:7], v[10:11], off
.LBB0_12:
	s_or_b64 exec, exec, s[2:3]
	s_andn2_b64 s[6:7], s[6:7], exec
.LBB0_13:
	s_or_b64 exec, exec, s[8:9]
	v_ashrrev_i32_e32 v1, 31, v0
	s_and_saveexec_b64 s[2:3], s[6:7]
	s_cbranch_execz .LBB0_15
; %bb.14:
	v_ashrrev_i32_e32 v6, 31, v3
	v_mul_lo_u32 v8, v3, s19
	v_mul_lo_u32 v9, v6, s18
	v_mad_u64_u32 v[6:7], s[6:7], v3, s18, 0
	v_add3_u32 v7, v7, v8, v9
	v_lshlrev_b64 v[6:7], 3, v[6:7]
	v_mov_b32_e32 v8, s14
	v_add_co_u32_e32 v6, vcc, s13, v6
	v_addc_co_u32_e32 v7, vcc, v8, v7, vcc
	v_lshlrev_b64 v[8:9], 3, v[0:1]
	global_load_dwordx2 v[10:11], v[6:7], off
	global_load_dwordx2 v[12:13], v[4:5], off
	v_mov_b32_e32 v14, s15
	v_add_co_u32_e32 v6, vcc, s4, v8
	v_addc_co_u32_e32 v7, vcc, v14, v9, vcc
	global_load_dwordx2 v[8:9], v[6:7], off
	s_waitcnt vmcnt(2)
	v_mul_f32_e32 v14, s12, v11
	v_mul_f32_e32 v10, s12, v10
	s_waitcnt vmcnt(1)
	v_pk_mul_f32 v[14:15], v[14:15], v[12:13] op_sel_hi:[0,1]
	v_pk_fma_f32 v[16:17], v[10:11], v[12:13], v[14:15] op_sel:[0,0,1] op_sel_hi:[1,1,0]
	v_pk_fma_f32 v[10:11], v[10:11], v[12:13], v[14:15] op_sel:[0,0,1] op_sel_hi:[0,1,0] neg_lo:[1,0,0] neg_hi:[1,0,0]
	v_mov_b32_e32 v17, v11
	s_waitcnt vmcnt(0)
	v_pk_add_f32 v[8:9], v[8:9], v[16:17]
	global_store_dwordx2 v[6:7], v[8:9], off
.LBB0_15:
	s_or_b64 exec, exec, s[2:3]
	v_add_u32_e32 v3, 64, v3
	s_andn2_b64 vcc, exec, s[10:11]
	v_cmp_gt_i32_e64 s[2:3], s5, v3
	s_cbranch_vccnz .LBB0_17
; %bb.16:
	v_cmp_lt_i32_e32 vcc, v2, v3
	s_and_b64 s[2:3], s[2:3], vcc
	s_xor_b64 s[8:9], s[2:3], -1
	s_and_b64 s[2:3], s[2:3], exec
	s_and_b64 s[8:9], s[8:9], exec
	s_cbranch_execz .LBB0_18
	s_branch .LBB0_19
.LBB0_17:
	s_mov_b64 s[8:9], 0
	s_mov_b64 s[2:3], 0
.LBB0_18:
	v_cmp_ge_i32_e32 vcc, v3, v2
	s_xor_b64 s[0:1], s[0:1], -1
	s_or_b64 s[0:1], s[0:1], vcc
	s_andn2_b64 s[6:7], s[8:9], exec
	s_and_b64 s[0:1], s[0:1], exec
	s_or_b64 s[2:3], s[2:3], exec
	s_or_b64 s[8:9], s[6:7], s[0:1]
.LBB0_19:
	s_and_saveexec_b64 s[6:7], s[8:9]
	s_cbranch_execnz .LBB0_23
; %bb.20:
	s_or_b64 exec, exec, s[6:7]
	s_and_saveexec_b64 s[0:1], s[2:3]
	s_cbranch_execz .LBB0_22
.LBB0_21:
	v_ashrrev_i32_e32 v2, 31, v3
	v_mul_lo_u32 v6, v3, s19
	v_mul_lo_u32 v7, v2, s18
	v_mad_u64_u32 v[2:3], s[0:1], v3, s18, 0
	v_add3_u32 v3, v3, v6, v7
	v_lshlrev_b64 v[2:3], 3, v[2:3]
	v_mov_b32_e32 v6, s14
	v_add_co_u32_e32 v2, vcc, s13, v2
	v_addc_co_u32_e32 v3, vcc, v6, v3, vcc
	v_lshlrev_b64 v[0:1], 3, v[0:1]
	global_load_dwordx2 v[6:7], v[2:3], off
	global_load_dwordx2 v[8:9], v[4:5], off
	v_mov_b32_e32 v10, s15
	v_add_co_u32_e32 v0, vcc, s4, v0
	v_addc_co_u32_e32 v1, vcc, v10, v1, vcc
	global_load_dwordx2 v[2:3], v[0:1], off offset:512
	s_waitcnt vmcnt(2)
	v_mul_f32_e32 v4, s12, v6
	v_mul_f32_e32 v6, s12, v7
	s_waitcnt vmcnt(1)
	v_pk_mul_f32 v[6:7], v[6:7], v[8:9] op_sel_hi:[0,1]
	v_pk_fma_f32 v[10:11], v[4:5], v[8:9], v[6:7] op_sel:[0,0,1] op_sel_hi:[1,1,0]
	v_pk_fma_f32 v[4:5], v[4:5], v[8:9], v[6:7] op_sel:[0,0,1] op_sel_hi:[0,1,0] neg_lo:[1,0,0] neg_hi:[1,0,0]
	v_mov_b32_e32 v11, v5
	s_waitcnt vmcnt(0)
	v_pk_add_f32 v[2:3], v[2:3], v[10:11]
	global_store_dwordx2 v[0:1], v[2:3], off offset:512
.LBB0_22:
	s_endpgm
.LBB0_23:
	v_cmp_eq_u32_e32 vcc, v3, v2
	v_cmp_gt_i32_e64 s[0:1], s5, v3
	s_and_b64 s[8:9], vcc, s[0:1]
	s_and_saveexec_b64 s[0:1], s[8:9]
	s_cbranch_execz .LBB0_25
; %bb.24:
	v_lshlrev_b64 v[6:7], 3, v[0:1]
	v_mov_b32_e32 v2, s15
	global_load_dwordx2 v[8:9], v[4:5], off
	v_add_co_u32_e32 v6, vcc, s4, v6
	v_addc_co_u32_e32 v7, vcc, v2, v7, vcc
	global_load_dword v10, v[6:7], off offset:512
	v_mov_b32_e32 v11, 0
	s_waitcnt vmcnt(1)
	v_mul_f32_e32 v2, v9, v9
	v_fmac_f32_e32 v2, v8, v8
	s_waitcnt vmcnt(0)
	v_fmac_f32_e32 v10, s12, v2
	global_store_dwordx2 v[6:7], v[10:11], off offset:512
.LBB0_25:
	s_or_b64 exec, exec, s[0:1]
	s_andn2_b64 s[2:3], s[2:3], exec
	s_or_b64 exec, exec, s[6:7]
	s_and_saveexec_b64 s[0:1], s[2:3]
	s_cbranch_execnz .LBB0_21
	s_branch .LBB0_22
	.section	.rodata,"a",@progbits
	.p2align	6, 0x0
	.amdhsa_kernel _ZL18rocblas_hpr_kernelILi64ELi16ELi2EPKfPK19rocblas_complex_numIfEPS3_EvbiT2_T3_lllT4_lli
		.amdhsa_group_segment_fixed_size 0
		.amdhsa_private_segment_fixed_size 0
		.amdhsa_kernarg_size 76
		.amdhsa_user_sgpr_count 6
		.amdhsa_user_sgpr_private_segment_buffer 1
		.amdhsa_user_sgpr_dispatch_ptr 0
		.amdhsa_user_sgpr_queue_ptr 0
		.amdhsa_user_sgpr_kernarg_segment_ptr 1
		.amdhsa_user_sgpr_dispatch_id 0
		.amdhsa_user_sgpr_flat_scratch_init 0
		.amdhsa_user_sgpr_kernarg_preload_length 0
		.amdhsa_user_sgpr_kernarg_preload_offset 0
		.amdhsa_user_sgpr_private_segment_size 0
		.amdhsa_uses_dynamic_stack 0
		.amdhsa_system_sgpr_private_segment_wavefront_offset 0
		.amdhsa_system_sgpr_workgroup_id_x 1
		.amdhsa_system_sgpr_workgroup_id_y 1
		.amdhsa_system_sgpr_workgroup_id_z 1
		.amdhsa_system_sgpr_workgroup_info 0
		.amdhsa_system_vgpr_workitem_id 1
		.amdhsa_next_free_vgpr 18
		.amdhsa_next_free_sgpr 28
		.amdhsa_accum_offset 20
		.amdhsa_reserve_vcc 1
		.amdhsa_reserve_flat_scratch 0
		.amdhsa_float_round_mode_32 0
		.amdhsa_float_round_mode_16_64 0
		.amdhsa_float_denorm_mode_32 3
		.amdhsa_float_denorm_mode_16_64 3
		.amdhsa_dx10_clamp 1
		.amdhsa_ieee_mode 1
		.amdhsa_fp16_overflow 0
		.amdhsa_tg_split 0
		.amdhsa_exception_fp_ieee_invalid_op 0
		.amdhsa_exception_fp_denorm_src 0
		.amdhsa_exception_fp_ieee_div_zero 0
		.amdhsa_exception_fp_ieee_overflow 0
		.amdhsa_exception_fp_ieee_underflow 0
		.amdhsa_exception_fp_ieee_inexact 0
		.amdhsa_exception_int_div_zero 0
	.end_amdhsa_kernel
	.section	.text._ZL18rocblas_hpr_kernelILi64ELi16ELi2EPKfPK19rocblas_complex_numIfEPS3_EvbiT2_T3_lllT4_lli,"axG",@progbits,_ZL18rocblas_hpr_kernelILi64ELi16ELi2EPKfPK19rocblas_complex_numIfEPS3_EvbiT2_T3_lllT4_lli,comdat
.Lfunc_end0:
	.size	_ZL18rocblas_hpr_kernelILi64ELi16ELi2EPKfPK19rocblas_complex_numIfEPS3_EvbiT2_T3_lllT4_lli, .Lfunc_end0-_ZL18rocblas_hpr_kernelILi64ELi16ELi2EPKfPK19rocblas_complex_numIfEPS3_EvbiT2_T3_lllT4_lli
                                        ; -- End function
	.section	.AMDGPU.csdata,"",@progbits
; Kernel info:
; codeLenInByte = 1160
; NumSgprs: 32
; NumVgprs: 18
; NumAgprs: 0
; TotalNumVgprs: 18
; ScratchSize: 0
; MemoryBound: 0
; FloatMode: 240
; IeeeMode: 1
; LDSByteSize: 0 bytes/workgroup (compile time only)
; SGPRBlocks: 3
; VGPRBlocks: 2
; NumSGPRsForWavesPerEU: 32
; NumVGPRsForWavesPerEU: 18
; AccumOffset: 20
; Occupancy: 8
; WaveLimiterHint : 0
; COMPUTE_PGM_RSRC2:SCRATCH_EN: 0
; COMPUTE_PGM_RSRC2:USER_SGPR: 6
; COMPUTE_PGM_RSRC2:TRAP_HANDLER: 0
; COMPUTE_PGM_RSRC2:TGID_X_EN: 1
; COMPUTE_PGM_RSRC2:TGID_Y_EN: 1
; COMPUTE_PGM_RSRC2:TGID_Z_EN: 1
; COMPUTE_PGM_RSRC2:TIDIG_COMP_CNT: 1
; COMPUTE_PGM_RSRC3_GFX90A:ACCUM_OFFSET: 4
; COMPUTE_PGM_RSRC3_GFX90A:TG_SPLIT: 0
	.section	.text._ZL18rocblas_hpr_kernelILi64ELi16ELi2EfPK19rocblas_complex_numIfEPS1_EvbiT2_T3_lllT4_lli,"axG",@progbits,_ZL18rocblas_hpr_kernelILi64ELi16ELi2EfPK19rocblas_complex_numIfEPS1_EvbiT2_T3_lllT4_lli,comdat
	.globl	_ZL18rocblas_hpr_kernelILi64ELi16ELi2EfPK19rocblas_complex_numIfEPS1_EvbiT2_T3_lllT4_lli ; -- Begin function _ZL18rocblas_hpr_kernelILi64ELi16ELi2EfPK19rocblas_complex_numIfEPS1_EvbiT2_T3_lllT4_lli
	.p2align	8
	.type	_ZL18rocblas_hpr_kernelILi64ELi16ELi2EfPK19rocblas_complex_numIfEPS1_EvbiT2_T3_lllT4_lli,@function
_ZL18rocblas_hpr_kernelILi64ELi16ELi2EfPK19rocblas_complex_numIfEPS1_EvbiT2_T3_lllT4_lli: ; @_ZL18rocblas_hpr_kernelILi64ELi16ELi2EfPK19rocblas_complex_numIfEPS1_EvbiT2_T3_lllT4_lli
; %bb.0:
	s_load_dwordx4 s[20:23], s[4:5], 0x0
	s_waitcnt lgkmcnt(0)
	v_cmp_eq_f32_e64 s[0:1], s22, 0
	s_and_b64 vcc, exec, s[0:1]
	s_cbranch_vccnz .LBB1_22
; %bb.1:
	s_bitcmp1_b32 s20, 0
	s_cselect_b64 s[2:3], -1, 0
	s_xor_b64 s[10:11], s[2:3], -1
	v_and_b32_e32 v1, 0x3ff, v0
	v_bfe_u32 v0, v0, 10, 10
	s_mov_b64 s[0:1], -1
	v_lshl_add_u32 v3, s6, 7, v1
	v_lshl_add_u32 v2, s7, 4, v0
	s_and_b64 vcc, exec, s[10:11]
	s_cbranch_vccz .LBB1_3
; %bb.2:
	s_lshl_b32 s0, s21, 1
	v_sub_u32_e32 v0, s0, v2
	v_mad_u64_u32 v[0:1], s[0:1], v2, v0, v[2:3]
	v_lshrrev_b32_e32 v1, 31, v0
	v_add_u32_e32 v0, v0, v1
	v_ashrrev_i32_e32 v0, 1, v0
	v_sub_u32_e32 v1, v3, v2
	v_add_u32_e32 v0, v1, v0
	s_cbranch_execz .LBB1_4
	s_branch .LBB1_5
.LBB1_3:
                                        ; implicit-def: $vgpr0
	s_andn2_b64 vcc, exec, s[0:1]
	s_cbranch_vccnz .LBB1_5
.LBB1_4:
	v_mad_u64_u32 v[0:1], s[0:1], v2, v2, v[2:3]
	v_lshrrev_b32_e32 v1, 31, v0
	v_add_u32_e32 v0, v0, v1
	v_ashrrev_i32_e32 v0, 1, v0
	v_add_u32_e32 v0, v0, v3
.LBB1_5:
	s_load_dwordx8 s[12:19], s[4:5], 0x10
	s_load_dwordx8 s[24:31], s[4:5], 0x30
	v_ashrrev_i32_e32 v1, 31, v2
	s_waitcnt lgkmcnt(0)
	s_mul_i32 s1, s8, s19
	s_mul_hi_u32 s2, s8, s18
	s_mul_i32 s0, s8, s18
	s_add_i32 s1, s2, s1
	s_lshl_b64 s[0:1], s[0:1], 3
	s_add_u32 s2, s12, s0
	s_addc_u32 s3, s13, s1
	s_lshl_b64 s[0:1], s[14:15], 3
	s_add_u32 s9, s2, s0
	s_addc_u32 s12, s3, s1
	s_mul_i32 s0, s8, s29
	s_mul_hi_u32 s1, s8, s28
	s_add_i32 s1, s1, s0
	s_mul_i32 s0, s8, s28
	s_lshl_b64 s[0:1], s[0:1], 3
	s_add_u32 s2, s24, s0
	s_addc_u32 s3, s25, s1
	s_lshl_b64 s[0:1], s[26:27], 3
	s_add_u32 s8, s2, s0
	s_addc_u32 s13, s3, s1
	v_mul_lo_u32 v6, v2, s17
	v_mul_lo_u32 v1, v1, s16
	v_mad_u64_u32 v[4:5], s[2:3], v2, s16, 0
	v_add3_u32 v5, v5, v6, v1
	v_cmp_gt_i32_e64 s[0:1], s21, v2
	v_lshlrev_b64 v[4:5], 3, v[4:5]
	s_and_b64 vcc, exec, s[10:11]
	s_cbranch_vccz .LBB1_7
; %bb.6:
	v_cmp_le_i32_e32 vcc, s21, v3
	v_cmp_le_i32_e64 s[2:3], v3, v2
	s_or_b64 s[2:3], s[2:3], vcc
	s_mov_b64 s[4:5], -1
	s_and_b64 s[2:3], s[2:3], exec
	v_mov_b32_e32 v1, s12
	s_cbranch_execz .LBB1_8
	s_branch .LBB1_9
.LBB1_7:
	s_mov_b64 s[2:3], 0
	s_mov_b64 s[4:5], 0
	v_mov_b32_e32 v1, s12
.LBB1_8:
	v_cmp_lt_i32_e32 vcc, v3, v2
	s_and_b64 s[6:7], vcc, s[0:1]
	s_xor_b64 s[14:15], s[6:7], -1
	s_andn2_b64 s[4:5], s[4:5], exec
	s_and_b64 s[6:7], s[6:7], exec
	s_or_b64 s[4:5], s[4:5], s[6:7]
	s_andn2_b64 s[2:3], s[2:3], exec
	s_and_b64 s[6:7], s[14:15], exec
	s_or_b64 s[2:3], s[2:3], s[6:7]
.LBB1_9:
	v_add_co_u32_e32 v4, vcc, s9, v4
	v_addc_co_u32_e32 v5, vcc, v1, v5, vcc
	s_and_saveexec_b64 s[6:7], s[2:3]
	s_xor_b64 s[6:7], exec, s[6:7]
	s_cbranch_execz .LBB1_13
; %bb.10:
	v_cmp_eq_u32_e32 vcc, v3, v2
	v_cmp_gt_i32_e64 s[2:3], s21, v3
	s_and_b64 s[14:15], vcc, s[2:3]
	s_and_saveexec_b64 s[2:3], s[14:15]
	s_cbranch_execz .LBB1_12
; %bb.11:
	v_ashrrev_i32_e32 v8, 31, v3
	v_mul_lo_u32 v10, v3, s17
	v_mul_lo_u32 v11, v8, s16
	v_mad_u64_u32 v[8:9], s[14:15], v3, s16, 0
	v_add3_u32 v9, v9, v10, v11
	v_lshlrev_b64 v[8:9], 3, v[8:9]
	v_ashrrev_i32_e32 v1, 31, v0
	v_mov_b32_e32 v10, s12
	v_add_co_u32_e32 v8, vcc, s9, v8
	v_lshlrev_b64 v[6:7], 3, v[0:1]
	v_addc_co_u32_e32 v9, vcc, v10, v9, vcc
	v_mov_b32_e32 v1, s13
	global_load_dwordx2 v[8:9], v[8:9], off
	v_add_co_u32_e32 v6, vcc, s8, v6
	v_addc_co_u32_e32 v7, vcc, v1, v7, vcc
	global_load_dword v10, v[6:7], off
	v_mov_b32_e32 v11, 0
	s_waitcnt vmcnt(1)
	v_mul_f32_e32 v1, v9, v9
	v_fmac_f32_e32 v1, v8, v8
	s_waitcnt vmcnt(0)
	v_fmac_f32_e32 v10, s22, v1
	global_store_dwordx2 v[6:7], v[10:11], off
.LBB1_12:
	s_or_b64 exec, exec, s[2:3]
	s_andn2_b64 s[4:5], s[4:5], exec
.LBB1_13:
	s_or_b64 exec, exec, s[6:7]
	v_ashrrev_i32_e32 v1, 31, v0
	s_and_saveexec_b64 s[2:3], s[4:5]
	s_cbranch_execz .LBB1_15
; %bb.14:
	v_ashrrev_i32_e32 v6, 31, v3
	v_mul_lo_u32 v8, v3, s17
	v_mul_lo_u32 v9, v6, s16
	v_mad_u64_u32 v[6:7], s[4:5], v3, s16, 0
	v_add3_u32 v7, v7, v8, v9
	v_lshlrev_b64 v[6:7], 3, v[6:7]
	v_mov_b32_e32 v8, s12
	v_add_co_u32_e32 v6, vcc, s9, v6
	v_addc_co_u32_e32 v7, vcc, v8, v7, vcc
	v_lshlrev_b64 v[8:9], 3, v[0:1]
	global_load_dwordx2 v[10:11], v[6:7], off
	global_load_dwordx2 v[12:13], v[4:5], off
	v_mov_b32_e32 v14, s13
	v_add_co_u32_e32 v6, vcc, s8, v8
	v_addc_co_u32_e32 v7, vcc, v14, v9, vcc
	global_load_dwordx2 v[8:9], v[6:7], off
	s_waitcnt vmcnt(2)
	v_mul_f32_e32 v14, s22, v11
	v_mul_f32_e32 v10, s22, v10
	s_waitcnt vmcnt(1)
	v_pk_mul_f32 v[14:15], v[14:15], v[12:13] op_sel_hi:[0,1]
	v_pk_fma_f32 v[16:17], v[10:11], v[12:13], v[14:15] op_sel:[0,0,1] op_sel_hi:[1,1,0]
	v_pk_fma_f32 v[10:11], v[10:11], v[12:13], v[14:15] op_sel:[0,0,1] op_sel_hi:[0,1,0] neg_lo:[1,0,0] neg_hi:[1,0,0]
	v_mov_b32_e32 v17, v11
	s_waitcnt vmcnt(0)
	v_pk_add_f32 v[8:9], v[8:9], v[16:17]
	global_store_dwordx2 v[6:7], v[8:9], off
.LBB1_15:
	s_or_b64 exec, exec, s[2:3]
	v_add_u32_e32 v3, 64, v3
	s_andn2_b64 vcc, exec, s[10:11]
	v_cmp_gt_i32_e64 s[2:3], s21, v3
	s_cbranch_vccnz .LBB1_17
; %bb.16:
	v_cmp_lt_i32_e32 vcc, v2, v3
	s_and_b64 s[2:3], s[2:3], vcc
	s_xor_b64 s[6:7], s[2:3], -1
	s_and_b64 s[2:3], s[2:3], exec
	s_and_b64 s[6:7], s[6:7], exec
	s_cbranch_execz .LBB1_18
	s_branch .LBB1_19
.LBB1_17:
	s_mov_b64 s[6:7], 0
	s_mov_b64 s[2:3], 0
.LBB1_18:
	v_cmp_ge_i32_e32 vcc, v3, v2
	s_xor_b64 s[0:1], s[0:1], -1
	s_or_b64 s[0:1], s[0:1], vcc
	s_andn2_b64 s[4:5], s[6:7], exec
	s_and_b64 s[0:1], s[0:1], exec
	s_or_b64 s[2:3], s[2:3], exec
	s_or_b64 s[6:7], s[4:5], s[0:1]
.LBB1_19:
	s_and_saveexec_b64 s[4:5], s[6:7]
	s_cbranch_execnz .LBB1_23
; %bb.20:
	s_or_b64 exec, exec, s[4:5]
	s_and_saveexec_b64 s[0:1], s[2:3]
	s_cbranch_execz .LBB1_22
.LBB1_21:
	v_ashrrev_i32_e32 v2, 31, v3
	v_mul_lo_u32 v6, v3, s17
	v_mul_lo_u32 v7, v2, s16
	v_mad_u64_u32 v[2:3], s[0:1], v3, s16, 0
	v_add3_u32 v3, v3, v6, v7
	v_lshlrev_b64 v[2:3], 3, v[2:3]
	v_mov_b32_e32 v6, s12
	v_add_co_u32_e32 v2, vcc, s9, v2
	v_addc_co_u32_e32 v3, vcc, v6, v3, vcc
	v_lshlrev_b64 v[0:1], 3, v[0:1]
	global_load_dwordx2 v[6:7], v[2:3], off
	global_load_dwordx2 v[8:9], v[4:5], off
	v_mov_b32_e32 v10, s13
	v_add_co_u32_e32 v0, vcc, s8, v0
	v_addc_co_u32_e32 v1, vcc, v10, v1, vcc
	global_load_dwordx2 v[2:3], v[0:1], off offset:512
	s_waitcnt vmcnt(2)
	v_mul_f32_e32 v4, s22, v6
	v_mul_f32_e32 v6, s22, v7
	s_waitcnt vmcnt(1)
	v_pk_mul_f32 v[6:7], v[6:7], v[8:9] op_sel_hi:[0,1]
	v_pk_fma_f32 v[10:11], v[4:5], v[8:9], v[6:7] op_sel:[0,0,1] op_sel_hi:[1,1,0]
	v_pk_fma_f32 v[4:5], v[4:5], v[8:9], v[6:7] op_sel:[0,0,1] op_sel_hi:[0,1,0] neg_lo:[1,0,0] neg_hi:[1,0,0]
	v_mov_b32_e32 v11, v5
	s_waitcnt vmcnt(0)
	v_pk_add_f32 v[2:3], v[2:3], v[10:11]
	global_store_dwordx2 v[0:1], v[2:3], off offset:512
.LBB1_22:
	s_endpgm
.LBB1_23:
	v_cmp_eq_u32_e32 vcc, v3, v2
	v_cmp_gt_i32_e64 s[0:1], s21, v3
	s_and_b64 s[6:7], vcc, s[0:1]
	s_and_saveexec_b64 s[0:1], s[6:7]
	s_cbranch_execz .LBB1_25
; %bb.24:
	v_lshlrev_b64 v[6:7], 3, v[0:1]
	v_mov_b32_e32 v2, s13
	global_load_dwordx2 v[8:9], v[4:5], off
	v_add_co_u32_e32 v6, vcc, s8, v6
	v_addc_co_u32_e32 v7, vcc, v2, v7, vcc
	global_load_dword v10, v[6:7], off offset:512
	v_mov_b32_e32 v11, 0
	s_waitcnt vmcnt(1)
	v_mul_f32_e32 v2, v9, v9
	v_fmac_f32_e32 v2, v8, v8
	s_waitcnt vmcnt(0)
	v_fmac_f32_e32 v10, s22, v2
	global_store_dwordx2 v[6:7], v[10:11], off offset:512
.LBB1_25:
	s_or_b64 exec, exec, s[0:1]
	s_andn2_b64 s[2:3], s[2:3], exec
	s_or_b64 exec, exec, s[4:5]
	s_and_saveexec_b64 s[0:1], s[2:3]
	s_cbranch_execnz .LBB1_21
	s_branch .LBB1_22
	.section	.rodata,"a",@progbits
	.p2align	6, 0x0
	.amdhsa_kernel _ZL18rocblas_hpr_kernelILi64ELi16ELi2EfPK19rocblas_complex_numIfEPS1_EvbiT2_T3_lllT4_lli
		.amdhsa_group_segment_fixed_size 0
		.amdhsa_private_segment_fixed_size 0
		.amdhsa_kernarg_size 76
		.amdhsa_user_sgpr_count 6
		.amdhsa_user_sgpr_private_segment_buffer 1
		.amdhsa_user_sgpr_dispatch_ptr 0
		.amdhsa_user_sgpr_queue_ptr 0
		.amdhsa_user_sgpr_kernarg_segment_ptr 1
		.amdhsa_user_sgpr_dispatch_id 0
		.amdhsa_user_sgpr_flat_scratch_init 0
		.amdhsa_user_sgpr_kernarg_preload_length 0
		.amdhsa_user_sgpr_kernarg_preload_offset 0
		.amdhsa_user_sgpr_private_segment_size 0
		.amdhsa_uses_dynamic_stack 0
		.amdhsa_system_sgpr_private_segment_wavefront_offset 0
		.amdhsa_system_sgpr_workgroup_id_x 1
		.amdhsa_system_sgpr_workgroup_id_y 1
		.amdhsa_system_sgpr_workgroup_id_z 1
		.amdhsa_system_sgpr_workgroup_info 0
		.amdhsa_system_vgpr_workitem_id 1
		.amdhsa_next_free_vgpr 18
		.amdhsa_next_free_sgpr 32
		.amdhsa_accum_offset 20
		.amdhsa_reserve_vcc 1
		.amdhsa_reserve_flat_scratch 0
		.amdhsa_float_round_mode_32 0
		.amdhsa_float_round_mode_16_64 0
		.amdhsa_float_denorm_mode_32 3
		.amdhsa_float_denorm_mode_16_64 3
		.amdhsa_dx10_clamp 1
		.amdhsa_ieee_mode 1
		.amdhsa_fp16_overflow 0
		.amdhsa_tg_split 0
		.amdhsa_exception_fp_ieee_invalid_op 0
		.amdhsa_exception_fp_denorm_src 0
		.amdhsa_exception_fp_ieee_div_zero 0
		.amdhsa_exception_fp_ieee_overflow 0
		.amdhsa_exception_fp_ieee_underflow 0
		.amdhsa_exception_fp_ieee_inexact 0
		.amdhsa_exception_int_div_zero 0
	.end_amdhsa_kernel
	.section	.text._ZL18rocblas_hpr_kernelILi64ELi16ELi2EfPK19rocblas_complex_numIfEPS1_EvbiT2_T3_lllT4_lli,"axG",@progbits,_ZL18rocblas_hpr_kernelILi64ELi16ELi2EfPK19rocblas_complex_numIfEPS1_EvbiT2_T3_lllT4_lli,comdat
.Lfunc_end1:
	.size	_ZL18rocblas_hpr_kernelILi64ELi16ELi2EfPK19rocblas_complex_numIfEPS1_EvbiT2_T3_lllT4_lli, .Lfunc_end1-_ZL18rocblas_hpr_kernelILi64ELi16ELi2EfPK19rocblas_complex_numIfEPS1_EvbiT2_T3_lllT4_lli
                                        ; -- End function
	.section	.AMDGPU.csdata,"",@progbits
; Kernel info:
; codeLenInByte = 1156
; NumSgprs: 36
; NumVgprs: 18
; NumAgprs: 0
; TotalNumVgprs: 18
; ScratchSize: 0
; MemoryBound: 0
; FloatMode: 240
; IeeeMode: 1
; LDSByteSize: 0 bytes/workgroup (compile time only)
; SGPRBlocks: 4
; VGPRBlocks: 2
; NumSGPRsForWavesPerEU: 36
; NumVGPRsForWavesPerEU: 18
; AccumOffset: 20
; Occupancy: 8
; WaveLimiterHint : 0
; COMPUTE_PGM_RSRC2:SCRATCH_EN: 0
; COMPUTE_PGM_RSRC2:USER_SGPR: 6
; COMPUTE_PGM_RSRC2:TRAP_HANDLER: 0
; COMPUTE_PGM_RSRC2:TGID_X_EN: 1
; COMPUTE_PGM_RSRC2:TGID_Y_EN: 1
; COMPUTE_PGM_RSRC2:TGID_Z_EN: 1
; COMPUTE_PGM_RSRC2:TIDIG_COMP_CNT: 1
; COMPUTE_PGM_RSRC3_GFX90A:ACCUM_OFFSET: 4
; COMPUTE_PGM_RSRC3_GFX90A:TG_SPLIT: 0
	.section	.text._ZL18rocblas_hpr_kernelILi64ELi16ELi2EPKdPK19rocblas_complex_numIdEPS3_EvbiT2_T3_lllT4_lli,"axG",@progbits,_ZL18rocblas_hpr_kernelILi64ELi16ELi2EPKdPK19rocblas_complex_numIdEPS3_EvbiT2_T3_lllT4_lli,comdat
	.globl	_ZL18rocblas_hpr_kernelILi64ELi16ELi2EPKdPK19rocblas_complex_numIdEPS3_EvbiT2_T3_lllT4_lli ; -- Begin function _ZL18rocblas_hpr_kernelILi64ELi16ELi2EPKdPK19rocblas_complex_numIdEPS3_EvbiT2_T3_lllT4_lli
	.p2align	8
	.type	_ZL18rocblas_hpr_kernelILi64ELi16ELi2EPKdPK19rocblas_complex_numIdEPS3_EvbiT2_T3_lllT4_lli,@function
_ZL18rocblas_hpr_kernelILi64ELi16ELi2EPKdPK19rocblas_complex_numIdEPS3_EvbiT2_T3_lllT4_lli: ; @_ZL18rocblas_hpr_kernelILi64ELi16ELi2EPKdPK19rocblas_complex_numIdEPS3_EvbiT2_T3_lllT4_lli
; %bb.0:
	s_load_dwordx16 s[12:27], s[4:5], 0x8
	s_waitcnt lgkmcnt(0)
	s_load_dwordx2 s[10:11], s[12:13], 0x0
	s_waitcnt lgkmcnt(0)
	v_cmp_eq_f64_e64 s[0:1], s[10:11], 0
	s_and_b64 vcc, exec, s[0:1]
	s_cbranch_vccnz .LBB2_22
; %bb.1:
	s_load_dwordx2 s[4:5], s[4:5], 0x0
	v_and_b32_e32 v1, 0x3ff, v0
	v_bfe_u32 v0, v0, 10, 10
	s_mov_b64 s[0:1], -1
	v_lshl_add_u32 v3, s6, 7, v1
	s_waitcnt lgkmcnt(0)
	s_bitcmp1_b32 s4, 0
	s_cselect_b64 s[2:3], -1, 0
	s_xor_b64 s[12:13], s[2:3], -1
	v_lshl_add_u32 v2, s7, 4, v0
	s_and_b64 vcc, exec, s[12:13]
	s_cbranch_vccz .LBB2_3
; %bb.2:
	s_lshl_b32 s0, s5, 1
	v_sub_u32_e32 v0, s0, v2
	v_mad_u64_u32 v[0:1], s[0:1], v2, v0, v[2:3]
	v_lshrrev_b32_e32 v1, 31, v0
	v_add_u32_e32 v0, v0, v1
	v_ashrrev_i32_e32 v0, 1, v0
	v_sub_u32_e32 v1, v3, v2
	v_add_u32_e32 v0, v1, v0
	s_cbranch_execz .LBB2_4
	s_branch .LBB2_5
.LBB2_3:
                                        ; implicit-def: $vgpr0
	s_andn2_b64 vcc, exec, s[0:1]
	s_cbranch_vccnz .LBB2_5
.LBB2_4:
	v_mad_u64_u32 v[0:1], s[0:1], v2, v2, v[2:3]
	v_lshrrev_b32_e32 v1, 31, v0
	v_add_u32_e32 v0, v0, v1
	v_ashrrev_i32_e32 v0, 1, v0
	v_add_u32_e32 v0, v0, v3
.LBB2_5:
	s_mul_i32 s0, s8, s21
	s_mul_hi_u32 s1, s8, s20
	s_add_i32 s1, s1, s0
	s_mul_i32 s0, s8, s20
	s_lshl_b64 s[0:1], s[0:1], 4
	s_add_u32 s2, s14, s0
	s_addc_u32 s3, s15, s1
	s_lshl_b64 s[0:1], s[16:17], 4
	s_add_u32 s15, s2, s0
	s_addc_u32 s16, s3, s1
	s_mul_i32 s0, s8, s27
	s_mul_hi_u32 s1, s8, s26
	s_add_i32 s1, s1, s0
	s_mul_i32 s0, s8, s26
	s_lshl_b64 s[0:1], s[0:1], 4
	s_add_u32 s2, s22, s0
	s_addc_u32 s3, s23, s1
	s_lshl_b64 s[0:1], s[24:25], 4
	s_add_u32 s4, s2, s0
	v_ashrrev_i32_e32 v1, 31, v2
	s_addc_u32 s14, s3, s1
	v_mul_lo_u32 v6, v2, s19
	v_mul_lo_u32 v1, v1, s18
	v_mad_u64_u32 v[4:5], s[2:3], v2, s18, 0
	v_add3_u32 v5, v5, v6, v1
	v_cmp_gt_i32_e64 s[0:1], s5, v2
	v_lshlrev_b64 v[4:5], 4, v[4:5]
	s_and_b64 vcc, exec, s[12:13]
	s_cbranch_vccz .LBB2_7
; %bb.6:
	v_cmp_le_i32_e32 vcc, s5, v3
	v_cmp_le_i32_e64 s[2:3], v3, v2
	s_or_b64 s[2:3], s[2:3], vcc
	s_mov_b64 s[6:7], -1
	s_and_b64 s[2:3], s[2:3], exec
	v_mov_b32_e32 v1, s16
	s_cbranch_execz .LBB2_8
	s_branch .LBB2_9
.LBB2_7:
	s_mov_b64 s[2:3], 0
	s_mov_b64 s[6:7], 0
	v_mov_b32_e32 v1, s16
.LBB2_8:
	v_cmp_lt_i32_e32 vcc, v3, v2
	s_and_b64 s[8:9], vcc, s[0:1]
	s_xor_b64 s[20:21], s[8:9], -1
	s_andn2_b64 s[6:7], s[6:7], exec
	s_and_b64 s[8:9], s[8:9], exec
	s_or_b64 s[6:7], s[6:7], s[8:9]
	s_andn2_b64 s[2:3], s[2:3], exec
	s_and_b64 s[8:9], s[20:21], exec
	s_or_b64 s[2:3], s[2:3], s[8:9]
.LBB2_9:
	v_add_co_u32_e32 v4, vcc, s15, v4
	v_addc_co_u32_e32 v5, vcc, v1, v5, vcc
	s_and_saveexec_b64 s[8:9], s[2:3]
	s_xor_b64 s[8:9], exec, s[8:9]
	s_cbranch_execz .LBB2_13
; %bb.10:
	v_cmp_eq_u32_e32 vcc, v3, v2
	v_cmp_gt_i32_e64 s[2:3], s5, v3
	s_and_b64 s[20:21], vcc, s[2:3]
	s_and_saveexec_b64 s[2:3], s[20:21]
	s_cbranch_execz .LBB2_12
; %bb.11:
	v_ashrrev_i32_e32 v6, 31, v3
	v_mul_lo_u32 v8, v3, s19
	v_mul_lo_u32 v9, v6, s18
	v_mad_u64_u32 v[6:7], s[20:21], v3, s18, 0
	v_add3_u32 v7, v7, v8, v9
	v_lshlrev_b64 v[6:7], 4, v[6:7]
	v_ashrrev_i32_e32 v1, 31, v0
	v_mov_b32_e32 v8, s16
	v_add_co_u32_e32 v6, vcc, s15, v6
	v_lshlrev_b64 v[10:11], 4, v[0:1]
	v_addc_co_u32_e32 v7, vcc, v8, v7, vcc
	v_mov_b32_e32 v1, s14
	global_load_dwordx4 v[6:9], v[6:7], off
	v_add_co_u32_e32 v14, vcc, s4, v10
	v_addc_co_u32_e32 v15, vcc, v1, v11, vcc
	global_load_dwordx2 v[10:11], v[14:15], off
	v_mov_b32_e32 v12, 0
	v_mov_b32_e32 v13, v12
	s_waitcnt vmcnt(1)
	v_mul_f64 v[8:9], v[8:9], v[8:9]
	v_fmac_f64_e32 v[8:9], v[6:7], v[6:7]
	s_waitcnt vmcnt(0)
	v_fmac_f64_e32 v[10:11], s[10:11], v[8:9]
	global_store_dwordx4 v[14:15], v[10:13], off
.LBB2_12:
	s_or_b64 exec, exec, s[2:3]
	s_andn2_b64 s[6:7], s[6:7], exec
.LBB2_13:
	s_or_b64 exec, exec, s[8:9]
	v_ashrrev_i32_e32 v1, 31, v0
	s_and_saveexec_b64 s[2:3], s[6:7]
	s_cbranch_execz .LBB2_15
; %bb.14:
	v_ashrrev_i32_e32 v6, 31, v3
	v_mul_lo_u32 v8, v3, s19
	v_mul_lo_u32 v9, v6, s18
	v_mad_u64_u32 v[6:7], s[6:7], v3, s18, 0
	v_add3_u32 v7, v7, v8, v9
	v_lshlrev_b64 v[6:7], 4, v[6:7]
	v_mov_b32_e32 v8, s16
	v_add_co_u32_e32 v14, vcc, s15, v6
	v_addc_co_u32_e32 v15, vcc, v8, v7, vcc
	global_load_dwordx4 v[6:9], v[14:15], off
	global_load_dwordx4 v[10:13], v[4:5], off
	v_lshlrev_b64 v[14:15], 4, v[0:1]
	v_mov_b32_e32 v16, s14
	v_add_co_u32_e32 v18, vcc, s4, v14
	v_addc_co_u32_e32 v19, vcc, v16, v15, vcc
	global_load_dwordx4 v[14:17], v[18:19], off
	s_waitcnt vmcnt(2)
	v_mul_f64 v[6:7], s[10:11], v[6:7]
	v_mul_f64 v[8:9], s[10:11], v[8:9]
	s_waitcnt vmcnt(1)
	v_mul_f64 v[20:21], v[8:9], v[12:13]
	v_mul_f64 v[12:13], v[6:7], v[12:13]
	v_fmac_f64_e32 v[20:21], v[6:7], v[10:11]
	v_fma_f64 v[8:9], v[8:9], v[10:11], -v[12:13]
	s_waitcnt vmcnt(0)
	v_add_f64 v[6:7], v[14:15], v[20:21]
	v_add_f64 v[8:9], v[16:17], v[8:9]
	global_store_dwordx4 v[18:19], v[6:9], off
.LBB2_15:
	s_or_b64 exec, exec, s[2:3]
	v_add_u32_e32 v3, 64, v3
	s_andn2_b64 vcc, exec, s[12:13]
	v_cmp_gt_i32_e64 s[2:3], s5, v3
	s_cbranch_vccnz .LBB2_17
; %bb.16:
	v_cmp_lt_i32_e32 vcc, v2, v3
	s_and_b64 s[2:3], s[2:3], vcc
	s_xor_b64 s[8:9], s[2:3], -1
	s_and_b64 s[2:3], s[2:3], exec
	s_and_b64 s[8:9], s[8:9], exec
	s_cbranch_execz .LBB2_18
	s_branch .LBB2_19
.LBB2_17:
	s_mov_b64 s[8:9], 0
	s_mov_b64 s[2:3], 0
.LBB2_18:
	v_cmp_ge_i32_e32 vcc, v3, v2
	s_xor_b64 s[0:1], s[0:1], -1
	s_or_b64 s[0:1], s[0:1], vcc
	s_andn2_b64 s[6:7], s[8:9], exec
	s_and_b64 s[0:1], s[0:1], exec
	s_or_b64 s[2:3], s[2:3], exec
	s_or_b64 s[8:9], s[6:7], s[0:1]
.LBB2_19:
	s_and_saveexec_b64 s[6:7], s[8:9]
	s_cbranch_execnz .LBB2_23
; %bb.20:
	s_or_b64 exec, exec, s[6:7]
	s_and_saveexec_b64 s[0:1], s[2:3]
	s_cbranch_execz .LBB2_22
.LBB2_21:
	v_ashrrev_i32_e32 v2, 31, v3
	v_mul_lo_u32 v6, v3, s19
	v_mul_lo_u32 v7, v2, s18
	v_mad_u64_u32 v[2:3], s[0:1], v3, s18, 0
	v_add3_u32 v3, v3, v6, v7
	v_lshlrev_b64 v[2:3], 4, v[2:3]
	v_mov_b32_e32 v6, s16
	v_add_co_u32_e32 v2, vcc, s15, v2
	v_addc_co_u32_e32 v3, vcc, v6, v3, vcc
	v_lshlrev_b64 v[0:1], 4, v[0:1]
	global_load_dwordx4 v[6:9], v[2:3], off
	global_load_dwordx4 v[10:13], v[4:5], off
	v_mov_b32_e32 v2, s14
	v_add_co_u32_e32 v4, vcc, s4, v0
	v_addc_co_u32_e32 v5, vcc, v2, v1, vcc
	global_load_dwordx4 v[0:3], v[4:5], off offset:1024
	s_waitcnt vmcnt(2)
	v_mul_f64 v[6:7], s[10:11], v[6:7]
	v_mul_f64 v[8:9], s[10:11], v[8:9]
	s_waitcnt vmcnt(1)
	v_mul_f64 v[14:15], v[8:9], v[12:13]
	v_mul_f64 v[12:13], v[6:7], v[12:13]
	v_fmac_f64_e32 v[14:15], v[6:7], v[10:11]
	v_fma_f64 v[6:7], v[8:9], v[10:11], -v[12:13]
	s_waitcnt vmcnt(0)
	v_add_f64 v[0:1], v[0:1], v[14:15]
	v_add_f64 v[2:3], v[2:3], v[6:7]
	global_store_dwordx4 v[4:5], v[0:3], off offset:1024
.LBB2_22:
	s_endpgm
.LBB2_23:
	v_cmp_eq_u32_e32 vcc, v3, v2
	v_cmp_gt_i32_e64 s[0:1], s5, v3
	s_and_b64 s[8:9], vcc, s[0:1]
	s_and_saveexec_b64 s[0:1], s[8:9]
	s_cbranch_execz .LBB2_25
; %bb.24:
	v_lshlrev_b64 v[10:11], 4, v[0:1]
	v_mov_b32_e32 v2, s14
	global_load_dwordx4 v[6:9], v[4:5], off
	v_add_co_u32_e32 v14, vcc, s4, v10
	v_addc_co_u32_e32 v15, vcc, v2, v11, vcc
	global_load_dwordx2 v[10:11], v[14:15], off offset:1024
	v_mov_b32_e32 v12, 0
	v_mov_b32_e32 v13, v12
	s_waitcnt vmcnt(1)
	v_mul_f64 v[8:9], v[8:9], v[8:9]
	v_fmac_f64_e32 v[8:9], v[6:7], v[6:7]
	s_waitcnt vmcnt(0)
	v_fmac_f64_e32 v[10:11], s[10:11], v[8:9]
	global_store_dwordx4 v[14:15], v[10:13], off offset:1024
.LBB2_25:
	s_or_b64 exec, exec, s[0:1]
	s_andn2_b64 s[2:3], s[2:3], exec
	s_or_b64 exec, exec, s[6:7]
	s_and_saveexec_b64 s[0:1], s[2:3]
	s_cbranch_execnz .LBB2_21
	s_branch .LBB2_22
	.section	.rodata,"a",@progbits
	.p2align	6, 0x0
	.amdhsa_kernel _ZL18rocblas_hpr_kernelILi64ELi16ELi2EPKdPK19rocblas_complex_numIdEPS3_EvbiT2_T3_lllT4_lli
		.amdhsa_group_segment_fixed_size 0
		.amdhsa_private_segment_fixed_size 0
		.amdhsa_kernarg_size 76
		.amdhsa_user_sgpr_count 6
		.amdhsa_user_sgpr_private_segment_buffer 1
		.amdhsa_user_sgpr_dispatch_ptr 0
		.amdhsa_user_sgpr_queue_ptr 0
		.amdhsa_user_sgpr_kernarg_segment_ptr 1
		.amdhsa_user_sgpr_dispatch_id 0
		.amdhsa_user_sgpr_flat_scratch_init 0
		.amdhsa_user_sgpr_kernarg_preload_length 0
		.amdhsa_user_sgpr_kernarg_preload_offset 0
		.amdhsa_user_sgpr_private_segment_size 0
		.amdhsa_uses_dynamic_stack 0
		.amdhsa_system_sgpr_private_segment_wavefront_offset 0
		.amdhsa_system_sgpr_workgroup_id_x 1
		.amdhsa_system_sgpr_workgroup_id_y 1
		.amdhsa_system_sgpr_workgroup_id_z 1
		.amdhsa_system_sgpr_workgroup_info 0
		.amdhsa_system_vgpr_workitem_id 1
		.amdhsa_next_free_vgpr 22
		.amdhsa_next_free_sgpr 28
		.amdhsa_accum_offset 24
		.amdhsa_reserve_vcc 1
		.amdhsa_reserve_flat_scratch 0
		.amdhsa_float_round_mode_32 0
		.amdhsa_float_round_mode_16_64 0
		.amdhsa_float_denorm_mode_32 3
		.amdhsa_float_denorm_mode_16_64 3
		.amdhsa_dx10_clamp 1
		.amdhsa_ieee_mode 1
		.amdhsa_fp16_overflow 0
		.amdhsa_tg_split 0
		.amdhsa_exception_fp_ieee_invalid_op 0
		.amdhsa_exception_fp_denorm_src 0
		.amdhsa_exception_fp_ieee_div_zero 0
		.amdhsa_exception_fp_ieee_overflow 0
		.amdhsa_exception_fp_ieee_underflow 0
		.amdhsa_exception_fp_ieee_inexact 0
		.amdhsa_exception_int_div_zero 0
	.end_amdhsa_kernel
	.section	.text._ZL18rocblas_hpr_kernelILi64ELi16ELi2EPKdPK19rocblas_complex_numIdEPS3_EvbiT2_T3_lllT4_lli,"axG",@progbits,_ZL18rocblas_hpr_kernelILi64ELi16ELi2EPKdPK19rocblas_complex_numIdEPS3_EvbiT2_T3_lllT4_lli,comdat
.Lfunc_end2:
	.size	_ZL18rocblas_hpr_kernelILi64ELi16ELi2EPKdPK19rocblas_complex_numIdEPS3_EvbiT2_T3_lllT4_lli, .Lfunc_end2-_ZL18rocblas_hpr_kernelILi64ELi16ELi2EPKdPK19rocblas_complex_numIdEPS3_EvbiT2_T3_lllT4_lli
                                        ; -- End function
	.section	.AMDGPU.csdata,"",@progbits
; Kernel info:
; codeLenInByte = 1208
; NumSgprs: 32
; NumVgprs: 22
; NumAgprs: 0
; TotalNumVgprs: 22
; ScratchSize: 0
; MemoryBound: 0
; FloatMode: 240
; IeeeMode: 1
; LDSByteSize: 0 bytes/workgroup (compile time only)
; SGPRBlocks: 3
; VGPRBlocks: 2
; NumSGPRsForWavesPerEU: 32
; NumVGPRsForWavesPerEU: 22
; AccumOffset: 24
; Occupancy: 8
; WaveLimiterHint : 0
; COMPUTE_PGM_RSRC2:SCRATCH_EN: 0
; COMPUTE_PGM_RSRC2:USER_SGPR: 6
; COMPUTE_PGM_RSRC2:TRAP_HANDLER: 0
; COMPUTE_PGM_RSRC2:TGID_X_EN: 1
; COMPUTE_PGM_RSRC2:TGID_Y_EN: 1
; COMPUTE_PGM_RSRC2:TGID_Z_EN: 1
; COMPUTE_PGM_RSRC2:TIDIG_COMP_CNT: 1
; COMPUTE_PGM_RSRC3_GFX90A:ACCUM_OFFSET: 5
; COMPUTE_PGM_RSRC3_GFX90A:TG_SPLIT: 0
	.section	.text._ZL18rocblas_hpr_kernelILi64ELi16ELi2EdPK19rocblas_complex_numIdEPS1_EvbiT2_T3_lllT4_lli,"axG",@progbits,_ZL18rocblas_hpr_kernelILi64ELi16ELi2EdPK19rocblas_complex_numIdEPS1_EvbiT2_T3_lllT4_lli,comdat
	.globl	_ZL18rocblas_hpr_kernelILi64ELi16ELi2EdPK19rocblas_complex_numIdEPS1_EvbiT2_T3_lllT4_lli ; -- Begin function _ZL18rocblas_hpr_kernelILi64ELi16ELi2EdPK19rocblas_complex_numIdEPS1_EvbiT2_T3_lllT4_lli
	.p2align	8
	.type	_ZL18rocblas_hpr_kernelILi64ELi16ELi2EdPK19rocblas_complex_numIdEPS1_EvbiT2_T3_lllT4_lli,@function
_ZL18rocblas_hpr_kernelILi64ELi16ELi2EdPK19rocblas_complex_numIdEPS1_EvbiT2_T3_lllT4_lli: ; @_ZL18rocblas_hpr_kernelILi64ELi16ELi2EdPK19rocblas_complex_numIdEPS1_EvbiT2_T3_lllT4_lli
; %bb.0:
	s_load_dwordx16 s[12:27], s[4:5], 0x8
	s_waitcnt lgkmcnt(0)
	v_cmp_eq_f64_e64 s[0:1], s[12:13], 0
	s_and_b64 vcc, exec, s[0:1]
	s_cbranch_vccnz .LBB3_22
; %bb.1:
	s_load_dwordx2 s[4:5], s[4:5], 0x0
	v_and_b32_e32 v1, 0x3ff, v0
	v_bfe_u32 v0, v0, 10, 10
	s_mov_b64 s[0:1], -1
	v_lshl_add_u32 v3, s6, 7, v1
	s_waitcnt lgkmcnt(0)
	s_bitcmp1_b32 s4, 0
	s_cselect_b64 s[2:3], -1, 0
	s_xor_b64 s[10:11], s[2:3], -1
	v_lshl_add_u32 v2, s7, 4, v0
	s_and_b64 vcc, exec, s[10:11]
	s_cbranch_vccz .LBB3_3
; %bb.2:
	s_lshl_b32 s0, s5, 1
	v_sub_u32_e32 v0, s0, v2
	v_mad_u64_u32 v[0:1], s[0:1], v2, v0, v[2:3]
	v_lshrrev_b32_e32 v1, 31, v0
	v_add_u32_e32 v0, v0, v1
	v_ashrrev_i32_e32 v0, 1, v0
	v_sub_u32_e32 v1, v3, v2
	v_add_u32_e32 v0, v1, v0
	s_cbranch_execz .LBB3_4
	s_branch .LBB3_5
.LBB3_3:
                                        ; implicit-def: $vgpr0
	s_andn2_b64 vcc, exec, s[0:1]
	s_cbranch_vccnz .LBB3_5
.LBB3_4:
	v_mad_u64_u32 v[0:1], s[0:1], v2, v2, v[2:3]
	v_lshrrev_b32_e32 v1, 31, v0
	v_add_u32_e32 v0, v0, v1
	v_ashrrev_i32_e32 v0, 1, v0
	v_add_u32_e32 v0, v0, v3
.LBB3_5:
	s_mul_i32 s0, s8, s21
	s_mul_hi_u32 s1, s8, s20
	s_add_i32 s1, s1, s0
	s_mul_i32 s0, s8, s20
	s_lshl_b64 s[0:1], s[0:1], 4
	s_add_u32 s2, s14, s0
	s_addc_u32 s3, s15, s1
	s_lshl_b64 s[0:1], s[16:17], 4
	s_add_u32 s15, s2, s0
	s_addc_u32 s16, s3, s1
	s_mul_i32 s0, s8, s27
	s_mul_hi_u32 s1, s8, s26
	s_add_i32 s1, s1, s0
	s_mul_i32 s0, s8, s26
	s_lshl_b64 s[0:1], s[0:1], 4
	s_add_u32 s2, s22, s0
	s_addc_u32 s3, s23, s1
	s_lshl_b64 s[0:1], s[24:25], 4
	s_add_u32 s4, s2, s0
	v_ashrrev_i32_e32 v1, 31, v2
	s_addc_u32 s14, s3, s1
	v_mul_lo_u32 v6, v2, s19
	v_mul_lo_u32 v1, v1, s18
	v_mad_u64_u32 v[4:5], s[2:3], v2, s18, 0
	v_add3_u32 v5, v5, v6, v1
	v_cmp_gt_i32_e64 s[0:1], s5, v2
	v_lshlrev_b64 v[4:5], 4, v[4:5]
	s_and_b64 vcc, exec, s[10:11]
	s_cbranch_vccz .LBB3_7
; %bb.6:
	v_cmp_le_i32_e32 vcc, s5, v3
	v_cmp_le_i32_e64 s[2:3], v3, v2
	s_or_b64 s[2:3], s[2:3], vcc
	s_mov_b64 s[6:7], -1
	s_and_b64 s[2:3], s[2:3], exec
	v_mov_b32_e32 v1, s16
	s_cbranch_execz .LBB3_8
	s_branch .LBB3_9
.LBB3_7:
	s_mov_b64 s[2:3], 0
	s_mov_b64 s[6:7], 0
	v_mov_b32_e32 v1, s16
.LBB3_8:
	v_cmp_lt_i32_e32 vcc, v3, v2
	s_and_b64 s[8:9], vcc, s[0:1]
	s_xor_b64 s[20:21], s[8:9], -1
	s_andn2_b64 s[6:7], s[6:7], exec
	s_and_b64 s[8:9], s[8:9], exec
	s_or_b64 s[6:7], s[6:7], s[8:9]
	s_andn2_b64 s[2:3], s[2:3], exec
	s_and_b64 s[8:9], s[20:21], exec
	s_or_b64 s[2:3], s[2:3], s[8:9]
.LBB3_9:
	v_add_co_u32_e32 v4, vcc, s15, v4
	v_addc_co_u32_e32 v5, vcc, v1, v5, vcc
	s_and_saveexec_b64 s[8:9], s[2:3]
	s_xor_b64 s[8:9], exec, s[8:9]
	s_cbranch_execz .LBB3_13
; %bb.10:
	v_cmp_eq_u32_e32 vcc, v3, v2
	v_cmp_gt_i32_e64 s[2:3], s5, v3
	s_and_b64 s[20:21], vcc, s[2:3]
	s_and_saveexec_b64 s[2:3], s[20:21]
	s_cbranch_execz .LBB3_12
; %bb.11:
	v_ashrrev_i32_e32 v6, 31, v3
	v_mul_lo_u32 v8, v3, s19
	v_mul_lo_u32 v9, v6, s18
	v_mad_u64_u32 v[6:7], s[20:21], v3, s18, 0
	v_add3_u32 v7, v7, v8, v9
	v_lshlrev_b64 v[6:7], 4, v[6:7]
	v_ashrrev_i32_e32 v1, 31, v0
	v_mov_b32_e32 v8, s16
	v_add_co_u32_e32 v6, vcc, s15, v6
	v_lshlrev_b64 v[10:11], 4, v[0:1]
	v_addc_co_u32_e32 v7, vcc, v8, v7, vcc
	v_mov_b32_e32 v1, s14
	global_load_dwordx4 v[6:9], v[6:7], off
	v_add_co_u32_e32 v14, vcc, s4, v10
	v_addc_co_u32_e32 v15, vcc, v1, v11, vcc
	global_load_dwordx2 v[10:11], v[14:15], off
	v_mov_b32_e32 v12, 0
	v_mov_b32_e32 v13, v12
	s_waitcnt vmcnt(1)
	v_mul_f64 v[8:9], v[8:9], v[8:9]
	v_fmac_f64_e32 v[8:9], v[6:7], v[6:7]
	s_waitcnt vmcnt(0)
	v_fmac_f64_e32 v[10:11], s[12:13], v[8:9]
	global_store_dwordx4 v[14:15], v[10:13], off
.LBB3_12:
	s_or_b64 exec, exec, s[2:3]
	s_andn2_b64 s[6:7], s[6:7], exec
.LBB3_13:
	s_or_b64 exec, exec, s[8:9]
	v_ashrrev_i32_e32 v1, 31, v0
	s_and_saveexec_b64 s[2:3], s[6:7]
	s_cbranch_execz .LBB3_15
; %bb.14:
	v_ashrrev_i32_e32 v6, 31, v3
	v_mul_lo_u32 v8, v3, s19
	v_mul_lo_u32 v9, v6, s18
	v_mad_u64_u32 v[6:7], s[6:7], v3, s18, 0
	v_add3_u32 v7, v7, v8, v9
	v_lshlrev_b64 v[6:7], 4, v[6:7]
	v_mov_b32_e32 v8, s16
	v_add_co_u32_e32 v14, vcc, s15, v6
	v_addc_co_u32_e32 v15, vcc, v8, v7, vcc
	global_load_dwordx4 v[6:9], v[14:15], off
	global_load_dwordx4 v[10:13], v[4:5], off
	v_lshlrev_b64 v[14:15], 4, v[0:1]
	v_mov_b32_e32 v16, s14
	v_add_co_u32_e32 v18, vcc, s4, v14
	v_addc_co_u32_e32 v19, vcc, v16, v15, vcc
	global_load_dwordx4 v[14:17], v[18:19], off
	s_waitcnt vmcnt(2)
	v_mul_f64 v[6:7], v[6:7], s[12:13]
	v_mul_f64 v[8:9], v[8:9], s[12:13]
	s_waitcnt vmcnt(1)
	v_mul_f64 v[20:21], v[8:9], v[12:13]
	v_mul_f64 v[12:13], v[6:7], v[12:13]
	v_fmac_f64_e32 v[20:21], v[6:7], v[10:11]
	v_fma_f64 v[8:9], v[8:9], v[10:11], -v[12:13]
	s_waitcnt vmcnt(0)
	v_add_f64 v[6:7], v[14:15], v[20:21]
	v_add_f64 v[8:9], v[16:17], v[8:9]
	global_store_dwordx4 v[18:19], v[6:9], off
.LBB3_15:
	s_or_b64 exec, exec, s[2:3]
	v_add_u32_e32 v3, 64, v3
	s_andn2_b64 vcc, exec, s[10:11]
	v_cmp_gt_i32_e64 s[2:3], s5, v3
	s_cbranch_vccnz .LBB3_17
; %bb.16:
	v_cmp_lt_i32_e32 vcc, v2, v3
	s_and_b64 s[2:3], s[2:3], vcc
	s_xor_b64 s[8:9], s[2:3], -1
	s_and_b64 s[2:3], s[2:3], exec
	s_and_b64 s[8:9], s[8:9], exec
	s_cbranch_execz .LBB3_18
	s_branch .LBB3_19
.LBB3_17:
	s_mov_b64 s[8:9], 0
	s_mov_b64 s[2:3], 0
.LBB3_18:
	v_cmp_ge_i32_e32 vcc, v3, v2
	s_xor_b64 s[0:1], s[0:1], -1
	s_or_b64 s[0:1], s[0:1], vcc
	s_andn2_b64 s[6:7], s[8:9], exec
	s_and_b64 s[0:1], s[0:1], exec
	s_or_b64 s[2:3], s[2:3], exec
	s_or_b64 s[8:9], s[6:7], s[0:1]
.LBB3_19:
	s_and_saveexec_b64 s[6:7], s[8:9]
	s_cbranch_execnz .LBB3_23
; %bb.20:
	s_or_b64 exec, exec, s[6:7]
	s_and_saveexec_b64 s[0:1], s[2:3]
	s_cbranch_execz .LBB3_22
.LBB3_21:
	v_ashrrev_i32_e32 v2, 31, v3
	v_mul_lo_u32 v6, v3, s19
	v_mul_lo_u32 v7, v2, s18
	v_mad_u64_u32 v[2:3], s[0:1], v3, s18, 0
	v_add3_u32 v3, v3, v6, v7
	v_lshlrev_b64 v[2:3], 4, v[2:3]
	v_mov_b32_e32 v6, s16
	v_add_co_u32_e32 v2, vcc, s15, v2
	v_addc_co_u32_e32 v3, vcc, v6, v3, vcc
	v_lshlrev_b64 v[0:1], 4, v[0:1]
	global_load_dwordx4 v[6:9], v[2:3], off
	global_load_dwordx4 v[10:13], v[4:5], off
	v_mov_b32_e32 v2, s14
	v_add_co_u32_e32 v4, vcc, s4, v0
	v_addc_co_u32_e32 v5, vcc, v2, v1, vcc
	global_load_dwordx4 v[0:3], v[4:5], off offset:1024
	s_waitcnt vmcnt(2)
	v_mul_f64 v[6:7], v[6:7], s[12:13]
	v_mul_f64 v[8:9], v[8:9], s[12:13]
	s_waitcnt vmcnt(1)
	v_mul_f64 v[14:15], v[8:9], v[12:13]
	v_mul_f64 v[12:13], v[6:7], v[12:13]
	v_fmac_f64_e32 v[14:15], v[6:7], v[10:11]
	v_fma_f64 v[6:7], v[8:9], v[10:11], -v[12:13]
	s_waitcnt vmcnt(0)
	v_add_f64 v[0:1], v[0:1], v[14:15]
	v_add_f64 v[2:3], v[2:3], v[6:7]
	global_store_dwordx4 v[4:5], v[0:3], off offset:1024
.LBB3_22:
	s_endpgm
.LBB3_23:
	v_cmp_eq_u32_e32 vcc, v3, v2
	v_cmp_gt_i32_e64 s[0:1], s5, v3
	s_and_b64 s[8:9], vcc, s[0:1]
	s_and_saveexec_b64 s[0:1], s[8:9]
	s_cbranch_execz .LBB3_25
; %bb.24:
	v_lshlrev_b64 v[10:11], 4, v[0:1]
	v_mov_b32_e32 v2, s14
	global_load_dwordx4 v[6:9], v[4:5], off
	v_add_co_u32_e32 v14, vcc, s4, v10
	v_addc_co_u32_e32 v15, vcc, v2, v11, vcc
	global_load_dwordx2 v[10:11], v[14:15], off offset:1024
	v_mov_b32_e32 v12, 0
	v_mov_b32_e32 v13, v12
	s_waitcnt vmcnt(1)
	v_mul_f64 v[8:9], v[8:9], v[8:9]
	v_fmac_f64_e32 v[8:9], v[6:7], v[6:7]
	s_waitcnt vmcnt(0)
	v_fmac_f64_e32 v[10:11], s[12:13], v[8:9]
	global_store_dwordx4 v[14:15], v[10:13], off offset:1024
.LBB3_25:
	s_or_b64 exec, exec, s[0:1]
	s_andn2_b64 s[2:3], s[2:3], exec
	s_or_b64 exec, exec, s[6:7]
	s_and_saveexec_b64 s[0:1], s[2:3]
	s_cbranch_execnz .LBB3_21
	s_branch .LBB3_22
	.section	.rodata,"a",@progbits
	.p2align	6, 0x0
	.amdhsa_kernel _ZL18rocblas_hpr_kernelILi64ELi16ELi2EdPK19rocblas_complex_numIdEPS1_EvbiT2_T3_lllT4_lli
		.amdhsa_group_segment_fixed_size 0
		.amdhsa_private_segment_fixed_size 0
		.amdhsa_kernarg_size 76
		.amdhsa_user_sgpr_count 6
		.amdhsa_user_sgpr_private_segment_buffer 1
		.amdhsa_user_sgpr_dispatch_ptr 0
		.amdhsa_user_sgpr_queue_ptr 0
		.amdhsa_user_sgpr_kernarg_segment_ptr 1
		.amdhsa_user_sgpr_dispatch_id 0
		.amdhsa_user_sgpr_flat_scratch_init 0
		.amdhsa_user_sgpr_kernarg_preload_length 0
		.amdhsa_user_sgpr_kernarg_preload_offset 0
		.amdhsa_user_sgpr_private_segment_size 0
		.amdhsa_uses_dynamic_stack 0
		.amdhsa_system_sgpr_private_segment_wavefront_offset 0
		.amdhsa_system_sgpr_workgroup_id_x 1
		.amdhsa_system_sgpr_workgroup_id_y 1
		.amdhsa_system_sgpr_workgroup_id_z 1
		.amdhsa_system_sgpr_workgroup_info 0
		.amdhsa_system_vgpr_workitem_id 1
		.amdhsa_next_free_vgpr 22
		.amdhsa_next_free_sgpr 28
		.amdhsa_accum_offset 24
		.amdhsa_reserve_vcc 1
		.amdhsa_reserve_flat_scratch 0
		.amdhsa_float_round_mode_32 0
		.amdhsa_float_round_mode_16_64 0
		.amdhsa_float_denorm_mode_32 3
		.amdhsa_float_denorm_mode_16_64 3
		.amdhsa_dx10_clamp 1
		.amdhsa_ieee_mode 1
		.amdhsa_fp16_overflow 0
		.amdhsa_tg_split 0
		.amdhsa_exception_fp_ieee_invalid_op 0
		.amdhsa_exception_fp_denorm_src 0
		.amdhsa_exception_fp_ieee_div_zero 0
		.amdhsa_exception_fp_ieee_overflow 0
		.amdhsa_exception_fp_ieee_underflow 0
		.amdhsa_exception_fp_ieee_inexact 0
		.amdhsa_exception_int_div_zero 0
	.end_amdhsa_kernel
	.section	.text._ZL18rocblas_hpr_kernelILi64ELi16ELi2EdPK19rocblas_complex_numIdEPS1_EvbiT2_T3_lllT4_lli,"axG",@progbits,_ZL18rocblas_hpr_kernelILi64ELi16ELi2EdPK19rocblas_complex_numIdEPS1_EvbiT2_T3_lllT4_lli,comdat
.Lfunc_end3:
	.size	_ZL18rocblas_hpr_kernelILi64ELi16ELi2EdPK19rocblas_complex_numIdEPS1_EvbiT2_T3_lllT4_lli, .Lfunc_end3-_ZL18rocblas_hpr_kernelILi64ELi16ELi2EdPK19rocblas_complex_numIdEPS1_EvbiT2_T3_lllT4_lli
                                        ; -- End function
	.section	.AMDGPU.csdata,"",@progbits
; Kernel info:
; codeLenInByte = 1196
; NumSgprs: 32
; NumVgprs: 22
; NumAgprs: 0
; TotalNumVgprs: 22
; ScratchSize: 0
; MemoryBound: 0
; FloatMode: 240
; IeeeMode: 1
; LDSByteSize: 0 bytes/workgroup (compile time only)
; SGPRBlocks: 3
; VGPRBlocks: 2
; NumSGPRsForWavesPerEU: 32
; NumVGPRsForWavesPerEU: 22
; AccumOffset: 24
; Occupancy: 8
; WaveLimiterHint : 0
; COMPUTE_PGM_RSRC2:SCRATCH_EN: 0
; COMPUTE_PGM_RSRC2:USER_SGPR: 6
; COMPUTE_PGM_RSRC2:TRAP_HANDLER: 0
; COMPUTE_PGM_RSRC2:TGID_X_EN: 1
; COMPUTE_PGM_RSRC2:TGID_Y_EN: 1
; COMPUTE_PGM_RSRC2:TGID_Z_EN: 1
; COMPUTE_PGM_RSRC2:TIDIG_COMP_CNT: 1
; COMPUTE_PGM_RSRC3_GFX90A:ACCUM_OFFSET: 5
; COMPUTE_PGM_RSRC3_GFX90A:TG_SPLIT: 0
	.section	.text._ZL18rocblas_hpr_kernelILi64ELi16ELi2EPKfPKPK19rocblas_complex_numIfEPKPS3_EvbiT2_T3_lllT4_lli,"axG",@progbits,_ZL18rocblas_hpr_kernelILi64ELi16ELi2EPKfPKPK19rocblas_complex_numIfEPKPS3_EvbiT2_T3_lllT4_lli,comdat
	.globl	_ZL18rocblas_hpr_kernelILi64ELi16ELi2EPKfPKPK19rocblas_complex_numIfEPKPS3_EvbiT2_T3_lllT4_lli ; -- Begin function _ZL18rocblas_hpr_kernelILi64ELi16ELi2EPKfPKPK19rocblas_complex_numIfEPKPS3_EvbiT2_T3_lllT4_lli
	.p2align	8
	.type	_ZL18rocblas_hpr_kernelILi64ELi16ELi2EPKfPKPK19rocblas_complex_numIfEPKPS3_EvbiT2_T3_lllT4_lli,@function
_ZL18rocblas_hpr_kernelILi64ELi16ELi2EPKfPKPK19rocblas_complex_numIfEPKPS3_EvbiT2_T3_lllT4_lli: ; @_ZL18rocblas_hpr_kernelILi64ELi16ELi2EPKfPKPK19rocblas_complex_numIfEPKPS3_EvbiT2_T3_lllT4_lli
; %bb.0:
	s_load_dwordx8 s[12:19], s[4:5], 0x8
	s_mov_b32 s9, 0
	s_waitcnt lgkmcnt(0)
	s_load_dword s20, s[12:13], 0x0
	s_waitcnt lgkmcnt(0)
	v_cmp_eq_f32_e64 s[0:1], s20, 0
	s_and_b64 vcc, exec, s[0:1]
	s_cbranch_vccnz .LBB4_22
; %bb.1:
	s_load_dwordx2 s[10:11], s[4:5], 0x0
	s_load_dwordx4 s[0:3], s[4:5], 0x30
	v_and_b32_e32 v1, 0x3ff, v0
	v_bfe_u32 v0, v0, 10, 10
	s_mov_b64 s[12:13], -1
	s_waitcnt lgkmcnt(0)
	s_bitcmp1_b32 s10, 0
	s_cselect_b64 s[4:5], -1, 0
	s_lshl_b64 s[22:23], s[8:9], 3
	s_xor_b64 s[4:5], s[4:5], -1
	s_add_u32 s8, s14, s22
	s_addc_u32 s9, s15, s23
	s_add_u32 s0, s0, s22
	s_addc_u32 s1, s1, s23
	s_load_dwordx2 s[8:9], s[8:9], 0x0
	v_lshl_add_u32 v3, s6, 7, v1
	s_load_dwordx2 s[0:1], s[0:1], 0x0
	v_lshl_add_u32 v2, s7, 4, v0
	s_and_b64 vcc, exec, s[4:5]
	s_cbranch_vccz .LBB4_3
; %bb.2:
	s_lshl_b32 s6, s11, 1
	v_sub_u32_e32 v0, s6, v2
	v_mad_u64_u32 v[0:1], s[6:7], v2, v0, v[2:3]
	v_lshrrev_b32_e32 v1, 31, v0
	v_add_u32_e32 v0, v0, v1
	v_ashrrev_i32_e32 v0, 1, v0
	v_sub_u32_e32 v1, v3, v2
	v_add_u32_e32 v0, v1, v0
	s_cbranch_execz .LBB4_4
	s_branch .LBB4_5
.LBB4_3:
                                        ; implicit-def: $vgpr0
	s_andn2_b64 vcc, exec, s[12:13]
	s_cbranch_vccnz .LBB4_5
.LBB4_4:
	v_mad_u64_u32 v[0:1], s[6:7], v2, v2, v[2:3]
	v_lshrrev_b32_e32 v1, 31, v0
	v_add_u32_e32 v0, v0, v1
	v_ashrrev_i32_e32 v0, 1, v0
	v_add_u32_e32 v0, v0, v3
.LBB4_5:
	s_lshl_b64 s[6:7], s[16:17], 3
	s_waitcnt lgkmcnt(0)
	s_add_u32 s13, s8, s6
	s_addc_u32 s14, s9, s7
	s_lshl_b64 s[2:3], s[2:3], 3
	s_add_u32 s10, s0, s2
	v_ashrrev_i32_e32 v1, 31, v2
	s_addc_u32 s12, s1, s3
	v_mul_lo_u32 v6, v2, s19
	v_mul_lo_u32 v1, v1, s18
	v_mad_u64_u32 v[4:5], s[2:3], v2, s18, 0
	v_add3_u32 v5, v5, v6, v1
	v_cmp_gt_i32_e64 s[0:1], s11, v2
	v_lshlrev_b64 v[4:5], 3, v[4:5]
	s_and_b64 vcc, exec, s[4:5]
	s_cbranch_vccz .LBB4_7
; %bb.6:
	v_cmp_le_i32_e32 vcc, s11, v3
	v_cmp_le_i32_e64 s[2:3], v3, v2
	s_or_b64 s[2:3], s[2:3], vcc
	s_mov_b64 s[6:7], -1
	s_and_b64 s[2:3], s[2:3], exec
	v_mov_b32_e32 v1, s14
	s_cbranch_execz .LBB4_8
	s_branch .LBB4_9
.LBB4_7:
	s_mov_b64 s[2:3], 0
	s_mov_b64 s[6:7], 0
	v_mov_b32_e32 v1, s14
.LBB4_8:
	v_cmp_lt_i32_e32 vcc, v3, v2
	s_and_b64 s[8:9], vcc, s[0:1]
	s_xor_b64 s[16:17], s[8:9], -1
	s_andn2_b64 s[6:7], s[6:7], exec
	s_and_b64 s[8:9], s[8:9], exec
	s_or_b64 s[6:7], s[6:7], s[8:9]
	s_andn2_b64 s[2:3], s[2:3], exec
	s_and_b64 s[8:9], s[16:17], exec
	s_or_b64 s[2:3], s[2:3], s[8:9]
.LBB4_9:
	v_add_co_u32_e32 v4, vcc, s13, v4
	v_addc_co_u32_e32 v5, vcc, v1, v5, vcc
	s_and_saveexec_b64 s[8:9], s[2:3]
	s_xor_b64 s[8:9], exec, s[8:9]
	s_cbranch_execz .LBB4_13
; %bb.10:
	v_cmp_eq_u32_e32 vcc, v3, v2
	v_cmp_gt_i32_e64 s[2:3], s11, v3
	s_and_b64 s[16:17], vcc, s[2:3]
	s_and_saveexec_b64 s[2:3], s[16:17]
	s_cbranch_execz .LBB4_12
; %bb.11:
	v_ashrrev_i32_e32 v8, 31, v3
	v_mul_lo_u32 v10, v3, s19
	v_mul_lo_u32 v11, v8, s18
	v_mad_u64_u32 v[8:9], s[16:17], v3, s18, 0
	v_add3_u32 v9, v9, v10, v11
	v_lshlrev_b64 v[8:9], 3, v[8:9]
	v_ashrrev_i32_e32 v1, 31, v0
	v_mov_b32_e32 v10, s14
	v_add_co_u32_e32 v8, vcc, s13, v8
	v_lshlrev_b64 v[6:7], 3, v[0:1]
	v_addc_co_u32_e32 v9, vcc, v10, v9, vcc
	v_mov_b32_e32 v1, s12
	global_load_dwordx2 v[8:9], v[8:9], off
	v_add_co_u32_e32 v6, vcc, s10, v6
	v_addc_co_u32_e32 v7, vcc, v1, v7, vcc
	global_load_dword v10, v[6:7], off
	v_mov_b32_e32 v11, 0
	s_waitcnt vmcnt(1)
	v_mul_f32_e32 v1, v9, v9
	v_fmac_f32_e32 v1, v8, v8
	s_waitcnt vmcnt(0)
	v_fmac_f32_e32 v10, s20, v1
	global_store_dwordx2 v[6:7], v[10:11], off
.LBB4_12:
	s_or_b64 exec, exec, s[2:3]
	s_andn2_b64 s[6:7], s[6:7], exec
.LBB4_13:
	s_or_b64 exec, exec, s[8:9]
	v_ashrrev_i32_e32 v1, 31, v0
	s_and_saveexec_b64 s[2:3], s[6:7]
	s_cbranch_execz .LBB4_15
; %bb.14:
	v_ashrrev_i32_e32 v6, 31, v3
	v_mul_lo_u32 v8, v3, s19
	v_mul_lo_u32 v9, v6, s18
	v_mad_u64_u32 v[6:7], s[6:7], v3, s18, 0
	v_add3_u32 v7, v7, v8, v9
	v_lshlrev_b64 v[6:7], 3, v[6:7]
	v_mov_b32_e32 v8, s14
	v_add_co_u32_e32 v6, vcc, s13, v6
	v_addc_co_u32_e32 v7, vcc, v8, v7, vcc
	v_lshlrev_b64 v[8:9], 3, v[0:1]
	global_load_dwordx2 v[10:11], v[6:7], off
	global_load_dwordx2 v[12:13], v[4:5], off
	v_mov_b32_e32 v14, s12
	v_add_co_u32_e32 v6, vcc, s10, v8
	v_addc_co_u32_e32 v7, vcc, v14, v9, vcc
	global_load_dwordx2 v[8:9], v[6:7], off
	s_waitcnt vmcnt(2)
	v_mul_f32_e32 v14, s20, v11
	v_mul_f32_e32 v10, s20, v10
	s_waitcnt vmcnt(1)
	v_pk_mul_f32 v[14:15], v[14:15], v[12:13] op_sel_hi:[0,1]
	v_pk_fma_f32 v[16:17], v[10:11], v[12:13], v[14:15] op_sel:[0,0,1] op_sel_hi:[1,1,0]
	v_pk_fma_f32 v[10:11], v[10:11], v[12:13], v[14:15] op_sel:[0,0,1] op_sel_hi:[0,1,0] neg_lo:[1,0,0] neg_hi:[1,0,0]
	v_mov_b32_e32 v17, v11
	s_waitcnt vmcnt(0)
	v_pk_add_f32 v[8:9], v[8:9], v[16:17]
	global_store_dwordx2 v[6:7], v[8:9], off
.LBB4_15:
	s_or_b64 exec, exec, s[2:3]
	v_add_u32_e32 v3, 64, v3
	s_andn2_b64 vcc, exec, s[4:5]
	v_cmp_gt_i32_e64 s[2:3], s11, v3
	s_cbranch_vccnz .LBB4_17
; %bb.16:
	v_cmp_lt_i32_e32 vcc, v2, v3
	s_and_b64 s[2:3], s[2:3], vcc
	s_xor_b64 s[6:7], s[2:3], -1
	s_and_b64 s[2:3], s[2:3], exec
	s_and_b64 s[6:7], s[6:7], exec
	s_cbranch_execz .LBB4_18
	s_branch .LBB4_19
.LBB4_17:
	s_mov_b64 s[6:7], 0
	s_mov_b64 s[2:3], 0
.LBB4_18:
	v_cmp_ge_i32_e32 vcc, v3, v2
	s_xor_b64 s[0:1], s[0:1], -1
	s_or_b64 s[0:1], s[0:1], vcc
	s_andn2_b64 s[4:5], s[6:7], exec
	s_and_b64 s[0:1], s[0:1], exec
	s_or_b64 s[2:3], s[2:3], exec
	s_or_b64 s[6:7], s[4:5], s[0:1]
.LBB4_19:
	s_and_saveexec_b64 s[4:5], s[6:7]
	s_cbranch_execnz .LBB4_23
; %bb.20:
	s_or_b64 exec, exec, s[4:5]
	s_and_saveexec_b64 s[0:1], s[2:3]
	s_cbranch_execz .LBB4_22
.LBB4_21:
	v_ashrrev_i32_e32 v2, 31, v3
	v_mul_lo_u32 v6, v3, s19
	v_mul_lo_u32 v7, v2, s18
	v_mad_u64_u32 v[2:3], s[0:1], v3, s18, 0
	v_add3_u32 v3, v3, v6, v7
	v_lshlrev_b64 v[2:3], 3, v[2:3]
	v_mov_b32_e32 v6, s14
	v_add_co_u32_e32 v2, vcc, s13, v2
	v_addc_co_u32_e32 v3, vcc, v6, v3, vcc
	v_lshlrev_b64 v[0:1], 3, v[0:1]
	global_load_dwordx2 v[6:7], v[2:3], off
	global_load_dwordx2 v[8:9], v[4:5], off
	v_mov_b32_e32 v10, s12
	v_add_co_u32_e32 v0, vcc, s10, v0
	v_addc_co_u32_e32 v1, vcc, v10, v1, vcc
	global_load_dwordx2 v[2:3], v[0:1], off offset:512
	s_waitcnt vmcnt(2)
	v_mul_f32_e32 v4, s20, v6
	v_mul_f32_e32 v6, s20, v7
	s_waitcnt vmcnt(1)
	v_pk_mul_f32 v[6:7], v[6:7], v[8:9] op_sel_hi:[0,1]
	v_pk_fma_f32 v[10:11], v[4:5], v[8:9], v[6:7] op_sel:[0,0,1] op_sel_hi:[1,1,0]
	v_pk_fma_f32 v[4:5], v[4:5], v[8:9], v[6:7] op_sel:[0,0,1] op_sel_hi:[0,1,0] neg_lo:[1,0,0] neg_hi:[1,0,0]
	v_mov_b32_e32 v11, v5
	s_waitcnt vmcnt(0)
	v_pk_add_f32 v[2:3], v[2:3], v[10:11]
	global_store_dwordx2 v[0:1], v[2:3], off offset:512
.LBB4_22:
	s_endpgm
.LBB4_23:
	v_cmp_eq_u32_e32 vcc, v3, v2
	v_cmp_gt_i32_e64 s[0:1], s11, v3
	s_and_b64 s[6:7], vcc, s[0:1]
	s_and_saveexec_b64 s[0:1], s[6:7]
	s_cbranch_execz .LBB4_25
; %bb.24:
	v_lshlrev_b64 v[6:7], 3, v[0:1]
	v_mov_b32_e32 v2, s12
	global_load_dwordx2 v[8:9], v[4:5], off
	v_add_co_u32_e32 v6, vcc, s10, v6
	v_addc_co_u32_e32 v7, vcc, v2, v7, vcc
	global_load_dword v10, v[6:7], off offset:512
	v_mov_b32_e32 v11, 0
	s_waitcnt vmcnt(1)
	v_mul_f32_e32 v2, v9, v9
	v_fmac_f32_e32 v2, v8, v8
	s_waitcnt vmcnt(0)
	v_fmac_f32_e32 v10, s20, v2
	global_store_dwordx2 v[6:7], v[10:11], off offset:512
.LBB4_25:
	s_or_b64 exec, exec, s[0:1]
	s_andn2_b64 s[2:3], s[2:3], exec
	s_or_b64 exec, exec, s[4:5]
	s_and_saveexec_b64 s[0:1], s[2:3]
	s_cbranch_execnz .LBB4_21
	s_branch .LBB4_22
	.section	.rodata,"a",@progbits
	.p2align	6, 0x0
	.amdhsa_kernel _ZL18rocblas_hpr_kernelILi64ELi16ELi2EPKfPKPK19rocblas_complex_numIfEPKPS3_EvbiT2_T3_lllT4_lli
		.amdhsa_group_segment_fixed_size 0
		.amdhsa_private_segment_fixed_size 0
		.amdhsa_kernarg_size 76
		.amdhsa_user_sgpr_count 6
		.amdhsa_user_sgpr_private_segment_buffer 1
		.amdhsa_user_sgpr_dispatch_ptr 0
		.amdhsa_user_sgpr_queue_ptr 0
		.amdhsa_user_sgpr_kernarg_segment_ptr 1
		.amdhsa_user_sgpr_dispatch_id 0
		.amdhsa_user_sgpr_flat_scratch_init 0
		.amdhsa_user_sgpr_kernarg_preload_length 0
		.amdhsa_user_sgpr_kernarg_preload_offset 0
		.amdhsa_user_sgpr_private_segment_size 0
		.amdhsa_uses_dynamic_stack 0
		.amdhsa_system_sgpr_private_segment_wavefront_offset 0
		.amdhsa_system_sgpr_workgroup_id_x 1
		.amdhsa_system_sgpr_workgroup_id_y 1
		.amdhsa_system_sgpr_workgroup_id_z 1
		.amdhsa_system_sgpr_workgroup_info 0
		.amdhsa_system_vgpr_workitem_id 1
		.amdhsa_next_free_vgpr 18
		.amdhsa_next_free_sgpr 24
		.amdhsa_accum_offset 20
		.amdhsa_reserve_vcc 1
		.amdhsa_reserve_flat_scratch 0
		.amdhsa_float_round_mode_32 0
		.amdhsa_float_round_mode_16_64 0
		.amdhsa_float_denorm_mode_32 3
		.amdhsa_float_denorm_mode_16_64 3
		.amdhsa_dx10_clamp 1
		.amdhsa_ieee_mode 1
		.amdhsa_fp16_overflow 0
		.amdhsa_tg_split 0
		.amdhsa_exception_fp_ieee_invalid_op 0
		.amdhsa_exception_fp_denorm_src 0
		.amdhsa_exception_fp_ieee_div_zero 0
		.amdhsa_exception_fp_ieee_overflow 0
		.amdhsa_exception_fp_ieee_underflow 0
		.amdhsa_exception_fp_ieee_inexact 0
		.amdhsa_exception_int_div_zero 0
	.end_amdhsa_kernel
	.section	.text._ZL18rocblas_hpr_kernelILi64ELi16ELi2EPKfPKPK19rocblas_complex_numIfEPKPS3_EvbiT2_T3_lllT4_lli,"axG",@progbits,_ZL18rocblas_hpr_kernelILi64ELi16ELi2EPKfPKPK19rocblas_complex_numIfEPKPS3_EvbiT2_T3_lllT4_lli,comdat
.Lfunc_end4:
	.size	_ZL18rocblas_hpr_kernelILi64ELi16ELi2EPKfPKPK19rocblas_complex_numIfEPKPS3_EvbiT2_T3_lllT4_lli, .Lfunc_end4-_ZL18rocblas_hpr_kernelILi64ELi16ELi2EPKfPKPK19rocblas_complex_numIfEPKPS3_EvbiT2_T3_lllT4_lli
                                        ; -- End function
	.section	.AMDGPU.csdata,"",@progbits
; Kernel info:
; codeLenInByte = 1156
; NumSgprs: 28
; NumVgprs: 18
; NumAgprs: 0
; TotalNumVgprs: 18
; ScratchSize: 0
; MemoryBound: 0
; FloatMode: 240
; IeeeMode: 1
; LDSByteSize: 0 bytes/workgroup (compile time only)
; SGPRBlocks: 3
; VGPRBlocks: 2
; NumSGPRsForWavesPerEU: 28
; NumVGPRsForWavesPerEU: 18
; AccumOffset: 20
; Occupancy: 8
; WaveLimiterHint : 1
; COMPUTE_PGM_RSRC2:SCRATCH_EN: 0
; COMPUTE_PGM_RSRC2:USER_SGPR: 6
; COMPUTE_PGM_RSRC2:TRAP_HANDLER: 0
; COMPUTE_PGM_RSRC2:TGID_X_EN: 1
; COMPUTE_PGM_RSRC2:TGID_Y_EN: 1
; COMPUTE_PGM_RSRC2:TGID_Z_EN: 1
; COMPUTE_PGM_RSRC2:TIDIG_COMP_CNT: 1
; COMPUTE_PGM_RSRC3_GFX90A:ACCUM_OFFSET: 4
; COMPUTE_PGM_RSRC3_GFX90A:TG_SPLIT: 0
	.section	.text._ZL18rocblas_hpr_kernelILi64ELi16ELi2EfPKPK19rocblas_complex_numIfEPKPS1_EvbiT2_T3_lllT4_lli,"axG",@progbits,_ZL18rocblas_hpr_kernelILi64ELi16ELi2EfPKPK19rocblas_complex_numIfEPKPS1_EvbiT2_T3_lllT4_lli,comdat
	.globl	_ZL18rocblas_hpr_kernelILi64ELi16ELi2EfPKPK19rocblas_complex_numIfEPKPS1_EvbiT2_T3_lllT4_lli ; -- Begin function _ZL18rocblas_hpr_kernelILi64ELi16ELi2EfPKPK19rocblas_complex_numIfEPKPS1_EvbiT2_T3_lllT4_lli
	.p2align	8
	.type	_ZL18rocblas_hpr_kernelILi64ELi16ELi2EfPKPK19rocblas_complex_numIfEPKPS1_EvbiT2_T3_lllT4_lli,@function
_ZL18rocblas_hpr_kernelILi64ELi16ELi2EfPKPK19rocblas_complex_numIfEPKPS1_EvbiT2_T3_lllT4_lli: ; @_ZL18rocblas_hpr_kernelILi64ELi16ELi2EfPKPK19rocblas_complex_numIfEPKPS1_EvbiT2_T3_lllT4_lli
; %bb.0:
	s_load_dwordx4 s[12:15], s[4:5], 0x0
	s_mov_b32 s9, 0
	s_waitcnt lgkmcnt(0)
	v_cmp_eq_f32_e64 s[0:1], s14, 0
	s_and_b64 vcc, exec, s[0:1]
	s_cbranch_vccnz .LBB5_22
; %bb.1:
	s_bitcmp1_b32 s12, 0
	s_load_dwordx4 s[16:19], s[4:5], 0x10
	s_cselect_b64 s[0:1], -1, 0
	s_xor_b64 s[20:21], s[0:1], -1
	s_load_dwordx2 s[10:11], s[4:5], 0x20
	s_load_dwordx4 s[0:3], s[4:5], 0x30
	s_lshl_b64 s[8:9], s[8:9], 3
	s_waitcnt lgkmcnt(0)
	s_add_u32 s4, s16, s8
	s_addc_u32 s5, s17, s9
	s_load_dwordx2 s[4:5], s[4:5], 0x0
	s_add_u32 s0, s0, s8
	s_addc_u32 s1, s1, s9
	s_load_dwordx2 s[0:1], s[0:1], 0x0
	v_and_b32_e32 v1, 0x3ff, v0
	v_bfe_u32 v0, v0, 10, 10
	s_mov_b64 s[22:23], -1
	v_lshl_add_u32 v3, s6, 7, v1
	v_lshl_add_u32 v2, s7, 4, v0
	s_and_b64 vcc, exec, s[20:21]
	s_cbranch_vccz .LBB5_3
; %bb.2:
	s_lshl_b32 s6, s13, 1
	v_sub_u32_e32 v0, s6, v2
	v_mad_u64_u32 v[0:1], s[6:7], v2, v0, v[2:3]
	v_lshrrev_b32_e32 v1, 31, v0
	v_add_u32_e32 v0, v0, v1
	v_ashrrev_i32_e32 v0, 1, v0
	v_sub_u32_e32 v1, v3, v2
	v_add_u32_e32 v0, v1, v0
	s_cbranch_execz .LBB5_4
	s_branch .LBB5_5
.LBB5_3:
                                        ; implicit-def: $vgpr0
	s_andn2_b64 vcc, exec, s[22:23]
	s_cbranch_vccnz .LBB5_5
.LBB5_4:
	v_mad_u64_u32 v[0:1], s[6:7], v2, v2, v[2:3]
	v_lshrrev_b32_e32 v1, 31, v0
	v_add_u32_e32 v0, v0, v1
	v_ashrrev_i32_e32 v0, 1, v0
	v_add_u32_e32 v0, v0, v3
.LBB5_5:
	s_lshl_b64 s[6:7], s[18:19], 3
	s_waitcnt lgkmcnt(0)
	s_add_u32 s12, s4, s6
	s_addc_u32 s15, s5, s7
	s_lshl_b64 s[2:3], s[2:3], 3
	s_add_u32 s8, s0, s2
	v_ashrrev_i32_e32 v1, 31, v2
	s_addc_u32 s9, s1, s3
	v_mul_lo_u32 v6, v2, s11
	v_mul_lo_u32 v1, v1, s10
	v_mad_u64_u32 v[4:5], s[2:3], v2, s10, 0
	v_add3_u32 v5, v5, v6, v1
	v_cmp_gt_i32_e64 s[0:1], s13, v2
	v_lshlrev_b64 v[4:5], 3, v[4:5]
	s_and_b64 vcc, exec, s[20:21]
	s_cbranch_vccz .LBB5_7
; %bb.6:
	v_cmp_le_i32_e32 vcc, s13, v3
	v_cmp_le_i32_e64 s[2:3], v3, v2
	s_or_b64 s[2:3], s[2:3], vcc
	s_mov_b64 s[4:5], -1
	s_and_b64 s[2:3], s[2:3], exec
	v_mov_b32_e32 v1, s15
	s_cbranch_execz .LBB5_8
	s_branch .LBB5_9
.LBB5_7:
	s_mov_b64 s[2:3], 0
	s_mov_b64 s[4:5], 0
	v_mov_b32_e32 v1, s15
.LBB5_8:
	v_cmp_lt_i32_e32 vcc, v3, v2
	s_and_b64 s[6:7], vcc, s[0:1]
	s_xor_b64 s[16:17], s[6:7], -1
	s_andn2_b64 s[4:5], s[4:5], exec
	s_and_b64 s[6:7], s[6:7], exec
	s_or_b64 s[4:5], s[4:5], s[6:7]
	s_andn2_b64 s[2:3], s[2:3], exec
	s_and_b64 s[6:7], s[16:17], exec
	s_or_b64 s[2:3], s[2:3], s[6:7]
.LBB5_9:
	v_add_co_u32_e32 v4, vcc, s12, v4
	v_addc_co_u32_e32 v5, vcc, v1, v5, vcc
	s_and_saveexec_b64 s[6:7], s[2:3]
	s_xor_b64 s[6:7], exec, s[6:7]
	s_cbranch_execz .LBB5_13
; %bb.10:
	v_cmp_eq_u32_e32 vcc, v3, v2
	v_cmp_gt_i32_e64 s[2:3], s13, v3
	s_and_b64 s[16:17], vcc, s[2:3]
	s_and_saveexec_b64 s[2:3], s[16:17]
	s_cbranch_execz .LBB5_12
; %bb.11:
	v_ashrrev_i32_e32 v8, 31, v3
	v_mul_lo_u32 v10, v3, s11
	v_mul_lo_u32 v11, v8, s10
	v_mad_u64_u32 v[8:9], s[16:17], v3, s10, 0
	v_add3_u32 v9, v9, v10, v11
	v_lshlrev_b64 v[8:9], 3, v[8:9]
	v_ashrrev_i32_e32 v1, 31, v0
	v_mov_b32_e32 v10, s15
	v_add_co_u32_e32 v8, vcc, s12, v8
	v_lshlrev_b64 v[6:7], 3, v[0:1]
	v_addc_co_u32_e32 v9, vcc, v10, v9, vcc
	v_mov_b32_e32 v1, s9
	global_load_dwordx2 v[8:9], v[8:9], off
	v_add_co_u32_e32 v6, vcc, s8, v6
	v_addc_co_u32_e32 v7, vcc, v1, v7, vcc
	global_load_dword v10, v[6:7], off
	v_mov_b32_e32 v11, 0
	s_waitcnt vmcnt(1)
	v_mul_f32_e32 v1, v9, v9
	v_fmac_f32_e32 v1, v8, v8
	s_waitcnt vmcnt(0)
	v_fmac_f32_e32 v10, s14, v1
	global_store_dwordx2 v[6:7], v[10:11], off
.LBB5_12:
	s_or_b64 exec, exec, s[2:3]
	s_andn2_b64 s[4:5], s[4:5], exec
.LBB5_13:
	s_or_b64 exec, exec, s[6:7]
	v_ashrrev_i32_e32 v1, 31, v0
	s_and_saveexec_b64 s[2:3], s[4:5]
	s_cbranch_execz .LBB5_15
; %bb.14:
	v_ashrrev_i32_e32 v6, 31, v3
	v_mul_lo_u32 v8, v3, s11
	v_mul_lo_u32 v9, v6, s10
	v_mad_u64_u32 v[6:7], s[4:5], v3, s10, 0
	v_add3_u32 v7, v7, v8, v9
	v_lshlrev_b64 v[6:7], 3, v[6:7]
	v_mov_b32_e32 v8, s15
	v_add_co_u32_e32 v6, vcc, s12, v6
	v_addc_co_u32_e32 v7, vcc, v8, v7, vcc
	v_lshlrev_b64 v[8:9], 3, v[0:1]
	global_load_dwordx2 v[10:11], v[6:7], off
	global_load_dwordx2 v[12:13], v[4:5], off
	v_mov_b32_e32 v14, s9
	v_add_co_u32_e32 v6, vcc, s8, v8
	v_addc_co_u32_e32 v7, vcc, v14, v9, vcc
	global_load_dwordx2 v[8:9], v[6:7], off
	s_waitcnt vmcnt(2)
	v_mul_f32_e32 v14, s14, v11
	v_mul_f32_e32 v10, s14, v10
	s_waitcnt vmcnt(1)
	v_pk_mul_f32 v[14:15], v[14:15], v[12:13] op_sel_hi:[0,1]
	v_pk_fma_f32 v[16:17], v[10:11], v[12:13], v[14:15] op_sel:[0,0,1] op_sel_hi:[1,1,0]
	v_pk_fma_f32 v[10:11], v[10:11], v[12:13], v[14:15] op_sel:[0,0,1] op_sel_hi:[0,1,0] neg_lo:[1,0,0] neg_hi:[1,0,0]
	v_mov_b32_e32 v17, v11
	s_waitcnt vmcnt(0)
	v_pk_add_f32 v[8:9], v[8:9], v[16:17]
	global_store_dwordx2 v[6:7], v[8:9], off
.LBB5_15:
	s_or_b64 exec, exec, s[2:3]
	v_add_u32_e32 v3, 64, v3
	s_andn2_b64 vcc, exec, s[20:21]
	v_cmp_gt_i32_e64 s[2:3], s13, v3
	s_cbranch_vccnz .LBB5_17
; %bb.16:
	v_cmp_lt_i32_e32 vcc, v2, v3
	s_and_b64 s[2:3], s[2:3], vcc
	s_xor_b64 s[6:7], s[2:3], -1
	s_and_b64 s[2:3], s[2:3], exec
	s_and_b64 s[6:7], s[6:7], exec
	s_cbranch_execz .LBB5_18
	s_branch .LBB5_19
.LBB5_17:
	s_mov_b64 s[6:7], 0
	s_mov_b64 s[2:3], 0
.LBB5_18:
	v_cmp_ge_i32_e32 vcc, v3, v2
	s_xor_b64 s[0:1], s[0:1], -1
	s_or_b64 s[0:1], s[0:1], vcc
	s_andn2_b64 s[4:5], s[6:7], exec
	s_and_b64 s[0:1], s[0:1], exec
	s_or_b64 s[2:3], s[2:3], exec
	s_or_b64 s[6:7], s[4:5], s[0:1]
.LBB5_19:
	s_and_saveexec_b64 s[4:5], s[6:7]
	s_cbranch_execnz .LBB5_23
; %bb.20:
	s_or_b64 exec, exec, s[4:5]
	s_and_saveexec_b64 s[0:1], s[2:3]
	s_cbranch_execz .LBB5_22
.LBB5_21:
	v_ashrrev_i32_e32 v2, 31, v3
	v_mul_lo_u32 v6, v3, s11
	v_mul_lo_u32 v7, v2, s10
	v_mad_u64_u32 v[2:3], s[0:1], v3, s10, 0
	v_add3_u32 v3, v3, v6, v7
	v_lshlrev_b64 v[2:3], 3, v[2:3]
	v_mov_b32_e32 v6, s15
	v_add_co_u32_e32 v2, vcc, s12, v2
	v_addc_co_u32_e32 v3, vcc, v6, v3, vcc
	v_lshlrev_b64 v[0:1], 3, v[0:1]
	global_load_dwordx2 v[6:7], v[2:3], off
	global_load_dwordx2 v[8:9], v[4:5], off
	v_mov_b32_e32 v10, s9
	v_add_co_u32_e32 v0, vcc, s8, v0
	v_addc_co_u32_e32 v1, vcc, v10, v1, vcc
	global_load_dwordx2 v[2:3], v[0:1], off offset:512
	s_waitcnt vmcnt(2)
	v_mul_f32_e32 v4, s14, v6
	v_mul_f32_e32 v6, s14, v7
	s_waitcnt vmcnt(1)
	v_pk_mul_f32 v[6:7], v[6:7], v[8:9] op_sel_hi:[0,1]
	v_pk_fma_f32 v[10:11], v[4:5], v[8:9], v[6:7] op_sel:[0,0,1] op_sel_hi:[1,1,0]
	v_pk_fma_f32 v[4:5], v[4:5], v[8:9], v[6:7] op_sel:[0,0,1] op_sel_hi:[0,1,0] neg_lo:[1,0,0] neg_hi:[1,0,0]
	v_mov_b32_e32 v11, v5
	s_waitcnt vmcnt(0)
	v_pk_add_f32 v[2:3], v[2:3], v[10:11]
	global_store_dwordx2 v[0:1], v[2:3], off offset:512
.LBB5_22:
	s_endpgm
.LBB5_23:
	v_cmp_eq_u32_e32 vcc, v3, v2
	v_cmp_gt_i32_e64 s[0:1], s13, v3
	s_and_b64 s[6:7], vcc, s[0:1]
	s_and_saveexec_b64 s[0:1], s[6:7]
	s_cbranch_execz .LBB5_25
; %bb.24:
	v_lshlrev_b64 v[6:7], 3, v[0:1]
	v_mov_b32_e32 v2, s9
	global_load_dwordx2 v[8:9], v[4:5], off
	v_add_co_u32_e32 v6, vcc, s8, v6
	v_addc_co_u32_e32 v7, vcc, v2, v7, vcc
	global_load_dword v10, v[6:7], off offset:512
	v_mov_b32_e32 v11, 0
	s_waitcnt vmcnt(1)
	v_mul_f32_e32 v2, v9, v9
	v_fmac_f32_e32 v2, v8, v8
	s_waitcnt vmcnt(0)
	v_fmac_f32_e32 v10, s14, v2
	global_store_dwordx2 v[6:7], v[10:11], off offset:512
.LBB5_25:
	s_or_b64 exec, exec, s[0:1]
	s_andn2_b64 s[2:3], s[2:3], exec
	s_or_b64 exec, exec, s[4:5]
	s_and_saveexec_b64 s[0:1], s[2:3]
	s_cbranch_execnz .LBB5_21
	s_branch .LBB5_22
	.section	.rodata,"a",@progbits
	.p2align	6, 0x0
	.amdhsa_kernel _ZL18rocblas_hpr_kernelILi64ELi16ELi2EfPKPK19rocblas_complex_numIfEPKPS1_EvbiT2_T3_lllT4_lli
		.amdhsa_group_segment_fixed_size 0
		.amdhsa_private_segment_fixed_size 0
		.amdhsa_kernarg_size 76
		.amdhsa_user_sgpr_count 6
		.amdhsa_user_sgpr_private_segment_buffer 1
		.amdhsa_user_sgpr_dispatch_ptr 0
		.amdhsa_user_sgpr_queue_ptr 0
		.amdhsa_user_sgpr_kernarg_segment_ptr 1
		.amdhsa_user_sgpr_dispatch_id 0
		.amdhsa_user_sgpr_flat_scratch_init 0
		.amdhsa_user_sgpr_kernarg_preload_length 0
		.amdhsa_user_sgpr_kernarg_preload_offset 0
		.amdhsa_user_sgpr_private_segment_size 0
		.amdhsa_uses_dynamic_stack 0
		.amdhsa_system_sgpr_private_segment_wavefront_offset 0
		.amdhsa_system_sgpr_workgroup_id_x 1
		.amdhsa_system_sgpr_workgroup_id_y 1
		.amdhsa_system_sgpr_workgroup_id_z 1
		.amdhsa_system_sgpr_workgroup_info 0
		.amdhsa_system_vgpr_workitem_id 1
		.amdhsa_next_free_vgpr 18
		.amdhsa_next_free_sgpr 24
		.amdhsa_accum_offset 20
		.amdhsa_reserve_vcc 1
		.amdhsa_reserve_flat_scratch 0
		.amdhsa_float_round_mode_32 0
		.amdhsa_float_round_mode_16_64 0
		.amdhsa_float_denorm_mode_32 3
		.amdhsa_float_denorm_mode_16_64 3
		.amdhsa_dx10_clamp 1
		.amdhsa_ieee_mode 1
		.amdhsa_fp16_overflow 0
		.amdhsa_tg_split 0
		.amdhsa_exception_fp_ieee_invalid_op 0
		.amdhsa_exception_fp_denorm_src 0
		.amdhsa_exception_fp_ieee_div_zero 0
		.amdhsa_exception_fp_ieee_overflow 0
		.amdhsa_exception_fp_ieee_underflow 0
		.amdhsa_exception_fp_ieee_inexact 0
		.amdhsa_exception_int_div_zero 0
	.end_amdhsa_kernel
	.section	.text._ZL18rocblas_hpr_kernelILi64ELi16ELi2EfPKPK19rocblas_complex_numIfEPKPS1_EvbiT2_T3_lllT4_lli,"axG",@progbits,_ZL18rocblas_hpr_kernelILi64ELi16ELi2EfPKPK19rocblas_complex_numIfEPKPS1_EvbiT2_T3_lllT4_lli,comdat
.Lfunc_end5:
	.size	_ZL18rocblas_hpr_kernelILi64ELi16ELi2EfPKPK19rocblas_complex_numIfEPKPS1_EvbiT2_T3_lllT4_lli, .Lfunc_end5-_ZL18rocblas_hpr_kernelILi64ELi16ELi2EfPKPK19rocblas_complex_numIfEPKPS1_EvbiT2_T3_lllT4_lli
                                        ; -- End function
	.section	.AMDGPU.csdata,"",@progbits
; Kernel info:
; codeLenInByte = 1152
; NumSgprs: 28
; NumVgprs: 18
; NumAgprs: 0
; TotalNumVgprs: 18
; ScratchSize: 0
; MemoryBound: 0
; FloatMode: 240
; IeeeMode: 1
; LDSByteSize: 0 bytes/workgroup (compile time only)
; SGPRBlocks: 3
; VGPRBlocks: 2
; NumSGPRsForWavesPerEU: 28
; NumVGPRsForWavesPerEU: 18
; AccumOffset: 20
; Occupancy: 8
; WaveLimiterHint : 1
; COMPUTE_PGM_RSRC2:SCRATCH_EN: 0
; COMPUTE_PGM_RSRC2:USER_SGPR: 6
; COMPUTE_PGM_RSRC2:TRAP_HANDLER: 0
; COMPUTE_PGM_RSRC2:TGID_X_EN: 1
; COMPUTE_PGM_RSRC2:TGID_Y_EN: 1
; COMPUTE_PGM_RSRC2:TGID_Z_EN: 1
; COMPUTE_PGM_RSRC2:TIDIG_COMP_CNT: 1
; COMPUTE_PGM_RSRC3_GFX90A:ACCUM_OFFSET: 4
; COMPUTE_PGM_RSRC3_GFX90A:TG_SPLIT: 0
	.section	.text._ZL18rocblas_hpr_kernelILi64ELi16ELi2EPKdPKPK19rocblas_complex_numIdEPKPS3_EvbiT2_T3_lllT4_lli,"axG",@progbits,_ZL18rocblas_hpr_kernelILi64ELi16ELi2EPKdPKPK19rocblas_complex_numIdEPKPS3_EvbiT2_T3_lllT4_lli,comdat
	.globl	_ZL18rocblas_hpr_kernelILi64ELi16ELi2EPKdPKPK19rocblas_complex_numIdEPKPS3_EvbiT2_T3_lllT4_lli ; -- Begin function _ZL18rocblas_hpr_kernelILi64ELi16ELi2EPKdPKPK19rocblas_complex_numIdEPKPS3_EvbiT2_T3_lllT4_lli
	.p2align	8
	.type	_ZL18rocblas_hpr_kernelILi64ELi16ELi2EPKdPKPK19rocblas_complex_numIdEPKPS3_EvbiT2_T3_lllT4_lli,@function
_ZL18rocblas_hpr_kernelILi64ELi16ELi2EPKdPKPK19rocblas_complex_numIdEPKPS3_EvbiT2_T3_lllT4_lli: ; @_ZL18rocblas_hpr_kernelILi64ELi16ELi2EPKdPKPK19rocblas_complex_numIdEPKPS3_EvbiT2_T3_lllT4_lli
; %bb.0:
	s_load_dwordx8 s[12:19], s[4:5], 0x8
	s_waitcnt lgkmcnt(0)
	s_load_dwordx2 s[10:11], s[12:13], 0x0
	s_waitcnt lgkmcnt(0)
	v_cmp_eq_f64_e64 s[0:1], s[10:11], 0
	s_and_b64 vcc, exec, s[0:1]
	s_cbranch_vccnz .LBB6_22
; %bb.1:
	s_load_dwordx2 s[12:13], s[4:5], 0x0
	s_load_dwordx4 s[0:3], s[4:5], 0x30
	s_mov_b32 s9, 0
	v_and_b32_e32 v1, 0x3ff, v0
	v_bfe_u32 v0, v0, 10, 10
	s_waitcnt lgkmcnt(0)
	s_bitcmp1_b32 s12, 0
	s_cselect_b64 s[4:5], -1, 0
	s_lshl_b64 s[22:23], s[8:9], 3
	s_xor_b64 s[4:5], s[4:5], -1
	s_add_u32 s8, s14, s22
	s_addc_u32 s9, s15, s23
	s_add_u32 s0, s0, s22
	s_addc_u32 s1, s1, s23
	s_load_dwordx2 s[8:9], s[8:9], 0x0
	s_mov_b64 s[20:21], -1
	s_load_dwordx2 s[0:1], s[0:1], 0x0
	v_lshl_add_u32 v3, s6, 7, v1
	v_lshl_add_u32 v2, s7, 4, v0
	s_and_b64 vcc, exec, s[4:5]
	s_cbranch_vccz .LBB6_3
; %bb.2:
	s_lshl_b32 s6, s13, 1
	v_sub_u32_e32 v0, s6, v2
	v_mad_u64_u32 v[0:1], s[6:7], v2, v0, v[2:3]
	v_lshrrev_b32_e32 v1, 31, v0
	v_add_u32_e32 v0, v0, v1
	v_ashrrev_i32_e32 v0, 1, v0
	v_sub_u32_e32 v1, v3, v2
	v_add_u32_e32 v0, v1, v0
	s_cbranch_execz .LBB6_4
	s_branch .LBB6_5
.LBB6_3:
                                        ; implicit-def: $vgpr0
	s_andn2_b64 vcc, exec, s[20:21]
	s_cbranch_vccnz .LBB6_5
.LBB6_4:
	v_mad_u64_u32 v[0:1], s[6:7], v2, v2, v[2:3]
	v_lshrrev_b32_e32 v1, 31, v0
	v_add_u32_e32 v0, v0, v1
	v_ashrrev_i32_e32 v0, 1, v0
	v_add_u32_e32 v0, v0, v3
.LBB6_5:
	s_lshl_b64 s[6:7], s[16:17], 4
	s_waitcnt lgkmcnt(0)
	s_add_u32 s15, s8, s6
	s_addc_u32 s16, s9, s7
	s_lshl_b64 s[2:3], s[2:3], 4
	s_add_u32 s12, s0, s2
	v_ashrrev_i32_e32 v1, 31, v2
	s_addc_u32 s14, s1, s3
	v_mul_lo_u32 v6, v2, s19
	v_mul_lo_u32 v1, v1, s18
	v_mad_u64_u32 v[4:5], s[2:3], v2, s18, 0
	v_add3_u32 v5, v5, v6, v1
	v_cmp_gt_i32_e64 s[0:1], s13, v2
	v_lshlrev_b64 v[4:5], 4, v[4:5]
	s_and_b64 vcc, exec, s[4:5]
	s_cbranch_vccz .LBB6_7
; %bb.6:
	v_cmp_le_i32_e32 vcc, s13, v3
	v_cmp_le_i32_e64 s[2:3], v3, v2
	s_or_b64 s[2:3], s[2:3], vcc
	s_mov_b64 s[6:7], -1
	s_and_b64 s[2:3], s[2:3], exec
	v_mov_b32_e32 v1, s16
	s_cbranch_execz .LBB6_8
	s_branch .LBB6_9
.LBB6_7:
	s_mov_b64 s[2:3], 0
	s_mov_b64 s[6:7], 0
	v_mov_b32_e32 v1, s16
.LBB6_8:
	v_cmp_lt_i32_e32 vcc, v3, v2
	s_and_b64 s[8:9], vcc, s[0:1]
	s_xor_b64 s[20:21], s[8:9], -1
	s_andn2_b64 s[6:7], s[6:7], exec
	s_and_b64 s[8:9], s[8:9], exec
	s_or_b64 s[6:7], s[6:7], s[8:9]
	s_andn2_b64 s[2:3], s[2:3], exec
	s_and_b64 s[8:9], s[20:21], exec
	s_or_b64 s[2:3], s[2:3], s[8:9]
.LBB6_9:
	v_add_co_u32_e32 v4, vcc, s15, v4
	v_addc_co_u32_e32 v5, vcc, v1, v5, vcc
	s_and_saveexec_b64 s[8:9], s[2:3]
	s_xor_b64 s[8:9], exec, s[8:9]
	s_cbranch_execz .LBB6_13
; %bb.10:
	v_cmp_eq_u32_e32 vcc, v3, v2
	v_cmp_gt_i32_e64 s[2:3], s13, v3
	s_and_b64 s[20:21], vcc, s[2:3]
	s_and_saveexec_b64 s[2:3], s[20:21]
	s_cbranch_execz .LBB6_12
; %bb.11:
	v_ashrrev_i32_e32 v6, 31, v3
	v_mul_lo_u32 v8, v3, s19
	v_mul_lo_u32 v9, v6, s18
	v_mad_u64_u32 v[6:7], s[20:21], v3, s18, 0
	v_add3_u32 v7, v7, v8, v9
	v_lshlrev_b64 v[6:7], 4, v[6:7]
	v_ashrrev_i32_e32 v1, 31, v0
	v_mov_b32_e32 v8, s16
	v_add_co_u32_e32 v6, vcc, s15, v6
	v_lshlrev_b64 v[10:11], 4, v[0:1]
	v_addc_co_u32_e32 v7, vcc, v8, v7, vcc
	v_mov_b32_e32 v1, s14
	global_load_dwordx4 v[6:9], v[6:7], off
	v_add_co_u32_e32 v14, vcc, s12, v10
	v_addc_co_u32_e32 v15, vcc, v1, v11, vcc
	global_load_dwordx2 v[10:11], v[14:15], off
	v_mov_b32_e32 v12, 0
	v_mov_b32_e32 v13, v12
	s_waitcnt vmcnt(1)
	v_mul_f64 v[8:9], v[8:9], v[8:9]
	v_fmac_f64_e32 v[8:9], v[6:7], v[6:7]
	s_waitcnt vmcnt(0)
	v_fmac_f64_e32 v[10:11], s[10:11], v[8:9]
	global_store_dwordx4 v[14:15], v[10:13], off
.LBB6_12:
	s_or_b64 exec, exec, s[2:3]
	s_andn2_b64 s[6:7], s[6:7], exec
.LBB6_13:
	s_or_b64 exec, exec, s[8:9]
	v_ashrrev_i32_e32 v1, 31, v0
	s_and_saveexec_b64 s[2:3], s[6:7]
	s_cbranch_execz .LBB6_15
; %bb.14:
	v_ashrrev_i32_e32 v6, 31, v3
	v_mul_lo_u32 v8, v3, s19
	v_mul_lo_u32 v9, v6, s18
	v_mad_u64_u32 v[6:7], s[6:7], v3, s18, 0
	v_add3_u32 v7, v7, v8, v9
	v_lshlrev_b64 v[6:7], 4, v[6:7]
	v_mov_b32_e32 v8, s16
	v_add_co_u32_e32 v14, vcc, s15, v6
	v_addc_co_u32_e32 v15, vcc, v8, v7, vcc
	global_load_dwordx4 v[6:9], v[14:15], off
	global_load_dwordx4 v[10:13], v[4:5], off
	v_lshlrev_b64 v[14:15], 4, v[0:1]
	v_mov_b32_e32 v16, s14
	v_add_co_u32_e32 v18, vcc, s12, v14
	v_addc_co_u32_e32 v19, vcc, v16, v15, vcc
	global_load_dwordx4 v[14:17], v[18:19], off
	s_waitcnt vmcnt(2)
	v_mul_f64 v[6:7], s[10:11], v[6:7]
	v_mul_f64 v[8:9], s[10:11], v[8:9]
	s_waitcnt vmcnt(1)
	v_mul_f64 v[20:21], v[8:9], v[12:13]
	v_mul_f64 v[12:13], v[6:7], v[12:13]
	v_fmac_f64_e32 v[20:21], v[6:7], v[10:11]
	v_fma_f64 v[8:9], v[8:9], v[10:11], -v[12:13]
	s_waitcnt vmcnt(0)
	v_add_f64 v[6:7], v[14:15], v[20:21]
	v_add_f64 v[8:9], v[16:17], v[8:9]
	global_store_dwordx4 v[18:19], v[6:9], off
.LBB6_15:
	s_or_b64 exec, exec, s[2:3]
	v_add_u32_e32 v3, 64, v3
	s_andn2_b64 vcc, exec, s[4:5]
	v_cmp_gt_i32_e64 s[2:3], s13, v3
	s_cbranch_vccnz .LBB6_17
; %bb.16:
	v_cmp_lt_i32_e32 vcc, v2, v3
	s_and_b64 s[2:3], s[2:3], vcc
	s_xor_b64 s[6:7], s[2:3], -1
	s_and_b64 s[2:3], s[2:3], exec
	s_and_b64 s[6:7], s[6:7], exec
	s_cbranch_execz .LBB6_18
	s_branch .LBB6_19
.LBB6_17:
	s_mov_b64 s[6:7], 0
	s_mov_b64 s[2:3], 0
.LBB6_18:
	v_cmp_ge_i32_e32 vcc, v3, v2
	s_xor_b64 s[0:1], s[0:1], -1
	s_or_b64 s[0:1], s[0:1], vcc
	s_andn2_b64 s[4:5], s[6:7], exec
	s_and_b64 s[0:1], s[0:1], exec
	s_or_b64 s[2:3], s[2:3], exec
	s_or_b64 s[6:7], s[4:5], s[0:1]
.LBB6_19:
	s_and_saveexec_b64 s[4:5], s[6:7]
	s_cbranch_execnz .LBB6_23
; %bb.20:
	s_or_b64 exec, exec, s[4:5]
	s_and_saveexec_b64 s[0:1], s[2:3]
	s_cbranch_execz .LBB6_22
.LBB6_21:
	v_ashrrev_i32_e32 v2, 31, v3
	v_mul_lo_u32 v6, v3, s19
	v_mul_lo_u32 v7, v2, s18
	v_mad_u64_u32 v[2:3], s[0:1], v3, s18, 0
	v_add3_u32 v3, v3, v6, v7
	v_lshlrev_b64 v[2:3], 4, v[2:3]
	v_mov_b32_e32 v6, s16
	v_add_co_u32_e32 v2, vcc, s15, v2
	v_addc_co_u32_e32 v3, vcc, v6, v3, vcc
	v_lshlrev_b64 v[0:1], 4, v[0:1]
	global_load_dwordx4 v[6:9], v[2:3], off
	global_load_dwordx4 v[10:13], v[4:5], off
	v_mov_b32_e32 v2, s14
	v_add_co_u32_e32 v4, vcc, s12, v0
	v_addc_co_u32_e32 v5, vcc, v2, v1, vcc
	global_load_dwordx4 v[0:3], v[4:5], off offset:1024
	s_waitcnt vmcnt(2)
	v_mul_f64 v[6:7], s[10:11], v[6:7]
	v_mul_f64 v[8:9], s[10:11], v[8:9]
	s_waitcnt vmcnt(1)
	v_mul_f64 v[14:15], v[8:9], v[12:13]
	v_mul_f64 v[12:13], v[6:7], v[12:13]
	v_fmac_f64_e32 v[14:15], v[6:7], v[10:11]
	v_fma_f64 v[6:7], v[8:9], v[10:11], -v[12:13]
	s_waitcnt vmcnt(0)
	v_add_f64 v[0:1], v[0:1], v[14:15]
	v_add_f64 v[2:3], v[2:3], v[6:7]
	global_store_dwordx4 v[4:5], v[0:3], off offset:1024
.LBB6_22:
	s_endpgm
.LBB6_23:
	v_cmp_eq_u32_e32 vcc, v3, v2
	v_cmp_gt_i32_e64 s[0:1], s13, v3
	s_and_b64 s[6:7], vcc, s[0:1]
	s_and_saveexec_b64 s[0:1], s[6:7]
	s_cbranch_execz .LBB6_25
; %bb.24:
	v_lshlrev_b64 v[10:11], 4, v[0:1]
	v_mov_b32_e32 v2, s14
	global_load_dwordx4 v[6:9], v[4:5], off
	v_add_co_u32_e32 v14, vcc, s12, v10
	v_addc_co_u32_e32 v15, vcc, v2, v11, vcc
	global_load_dwordx2 v[10:11], v[14:15], off offset:1024
	v_mov_b32_e32 v12, 0
	v_mov_b32_e32 v13, v12
	s_waitcnt vmcnt(1)
	v_mul_f64 v[8:9], v[8:9], v[8:9]
	v_fmac_f64_e32 v[8:9], v[6:7], v[6:7]
	s_waitcnt vmcnt(0)
	v_fmac_f64_e32 v[10:11], s[10:11], v[8:9]
	global_store_dwordx4 v[14:15], v[10:13], off offset:1024
.LBB6_25:
	s_or_b64 exec, exec, s[0:1]
	s_andn2_b64 s[2:3], s[2:3], exec
	s_or_b64 exec, exec, s[4:5]
	s_and_saveexec_b64 s[0:1], s[2:3]
	s_cbranch_execnz .LBB6_21
	s_branch .LBB6_22
	.section	.rodata,"a",@progbits
	.p2align	6, 0x0
	.amdhsa_kernel _ZL18rocblas_hpr_kernelILi64ELi16ELi2EPKdPKPK19rocblas_complex_numIdEPKPS3_EvbiT2_T3_lllT4_lli
		.amdhsa_group_segment_fixed_size 0
		.amdhsa_private_segment_fixed_size 0
		.amdhsa_kernarg_size 76
		.amdhsa_user_sgpr_count 6
		.amdhsa_user_sgpr_private_segment_buffer 1
		.amdhsa_user_sgpr_dispatch_ptr 0
		.amdhsa_user_sgpr_queue_ptr 0
		.amdhsa_user_sgpr_kernarg_segment_ptr 1
		.amdhsa_user_sgpr_dispatch_id 0
		.amdhsa_user_sgpr_flat_scratch_init 0
		.amdhsa_user_sgpr_kernarg_preload_length 0
		.amdhsa_user_sgpr_kernarg_preload_offset 0
		.amdhsa_user_sgpr_private_segment_size 0
		.amdhsa_uses_dynamic_stack 0
		.amdhsa_system_sgpr_private_segment_wavefront_offset 0
		.amdhsa_system_sgpr_workgroup_id_x 1
		.amdhsa_system_sgpr_workgroup_id_y 1
		.amdhsa_system_sgpr_workgroup_id_z 1
		.amdhsa_system_sgpr_workgroup_info 0
		.amdhsa_system_vgpr_workitem_id 1
		.amdhsa_next_free_vgpr 22
		.amdhsa_next_free_sgpr 24
		.amdhsa_accum_offset 24
		.amdhsa_reserve_vcc 1
		.amdhsa_reserve_flat_scratch 0
		.amdhsa_float_round_mode_32 0
		.amdhsa_float_round_mode_16_64 0
		.amdhsa_float_denorm_mode_32 3
		.amdhsa_float_denorm_mode_16_64 3
		.amdhsa_dx10_clamp 1
		.amdhsa_ieee_mode 1
		.amdhsa_fp16_overflow 0
		.amdhsa_tg_split 0
		.amdhsa_exception_fp_ieee_invalid_op 0
		.amdhsa_exception_fp_denorm_src 0
		.amdhsa_exception_fp_ieee_div_zero 0
		.amdhsa_exception_fp_ieee_overflow 0
		.amdhsa_exception_fp_ieee_underflow 0
		.amdhsa_exception_fp_ieee_inexact 0
		.amdhsa_exception_int_div_zero 0
	.end_amdhsa_kernel
	.section	.text._ZL18rocblas_hpr_kernelILi64ELi16ELi2EPKdPKPK19rocblas_complex_numIdEPKPS3_EvbiT2_T3_lllT4_lli,"axG",@progbits,_ZL18rocblas_hpr_kernelILi64ELi16ELi2EPKdPKPK19rocblas_complex_numIdEPKPS3_EvbiT2_T3_lllT4_lli,comdat
.Lfunc_end6:
	.size	_ZL18rocblas_hpr_kernelILi64ELi16ELi2EPKdPKPK19rocblas_complex_numIdEPKPS3_EvbiT2_T3_lllT4_lli, .Lfunc_end6-_ZL18rocblas_hpr_kernelILi64ELi16ELi2EPKdPKPK19rocblas_complex_numIdEPKPS3_EvbiT2_T3_lllT4_lli
                                        ; -- End function
	.section	.AMDGPU.csdata,"",@progbits
; Kernel info:
; codeLenInByte = 1204
; NumSgprs: 28
; NumVgprs: 22
; NumAgprs: 0
; TotalNumVgprs: 22
; ScratchSize: 0
; MemoryBound: 0
; FloatMode: 240
; IeeeMode: 1
; LDSByteSize: 0 bytes/workgroup (compile time only)
; SGPRBlocks: 3
; VGPRBlocks: 2
; NumSGPRsForWavesPerEU: 28
; NumVGPRsForWavesPerEU: 22
; AccumOffset: 24
; Occupancy: 8
; WaveLimiterHint : 1
; COMPUTE_PGM_RSRC2:SCRATCH_EN: 0
; COMPUTE_PGM_RSRC2:USER_SGPR: 6
; COMPUTE_PGM_RSRC2:TRAP_HANDLER: 0
; COMPUTE_PGM_RSRC2:TGID_X_EN: 1
; COMPUTE_PGM_RSRC2:TGID_Y_EN: 1
; COMPUTE_PGM_RSRC2:TGID_Z_EN: 1
; COMPUTE_PGM_RSRC2:TIDIG_COMP_CNT: 1
; COMPUTE_PGM_RSRC3_GFX90A:ACCUM_OFFSET: 5
; COMPUTE_PGM_RSRC3_GFX90A:TG_SPLIT: 0
	.section	.text._ZL18rocblas_hpr_kernelILi64ELi16ELi2EdPKPK19rocblas_complex_numIdEPKPS1_EvbiT2_T3_lllT4_lli,"axG",@progbits,_ZL18rocblas_hpr_kernelILi64ELi16ELi2EdPKPK19rocblas_complex_numIdEPKPS1_EvbiT2_T3_lllT4_lli,comdat
	.globl	_ZL18rocblas_hpr_kernelILi64ELi16ELi2EdPKPK19rocblas_complex_numIdEPKPS1_EvbiT2_T3_lllT4_lli ; -- Begin function _ZL18rocblas_hpr_kernelILi64ELi16ELi2EdPKPK19rocblas_complex_numIdEPKPS1_EvbiT2_T3_lllT4_lli
	.p2align	8
	.type	_ZL18rocblas_hpr_kernelILi64ELi16ELi2EdPKPK19rocblas_complex_numIdEPKPS1_EvbiT2_T3_lllT4_lli,@function
_ZL18rocblas_hpr_kernelILi64ELi16ELi2EdPKPK19rocblas_complex_numIdEPKPS1_EvbiT2_T3_lllT4_lli: ; @_ZL18rocblas_hpr_kernelILi64ELi16ELi2EdPKPK19rocblas_complex_numIdEPKPS1_EvbiT2_T3_lllT4_lli
; %bb.0:
	s_load_dwordx8 s[12:19], s[4:5], 0x8
	s_waitcnt lgkmcnt(0)
	v_cmp_eq_f64_e64 s[0:1], s[12:13], 0
	s_and_b64 vcc, exec, s[0:1]
	s_cbranch_vccnz .LBB7_22
; %bb.1:
	s_load_dwordx2 s[10:11], s[4:5], 0x0
	s_load_dwordx4 s[0:3], s[4:5], 0x30
	s_mov_b32 s9, 0
	v_and_b32_e32 v1, 0x3ff, v0
	v_bfe_u32 v0, v0, 10, 10
	s_waitcnt lgkmcnt(0)
	s_bitcmp1_b32 s10, 0
	s_cselect_b64 s[4:5], -1, 0
	s_lshl_b64 s[22:23], s[8:9], 3
	s_xor_b64 s[4:5], s[4:5], -1
	s_add_u32 s8, s14, s22
	s_addc_u32 s9, s15, s23
	s_add_u32 s0, s0, s22
	s_addc_u32 s1, s1, s23
	s_load_dwordx2 s[8:9], s[8:9], 0x0
	s_mov_b64 s[20:21], -1
	s_load_dwordx2 s[0:1], s[0:1], 0x0
	v_lshl_add_u32 v3, s6, 7, v1
	v_lshl_add_u32 v2, s7, 4, v0
	s_and_b64 vcc, exec, s[4:5]
	s_cbranch_vccz .LBB7_3
; %bb.2:
	s_lshl_b32 s6, s11, 1
	v_sub_u32_e32 v0, s6, v2
	v_mad_u64_u32 v[0:1], s[6:7], v2, v0, v[2:3]
	v_lshrrev_b32_e32 v1, 31, v0
	v_add_u32_e32 v0, v0, v1
	v_ashrrev_i32_e32 v0, 1, v0
	v_sub_u32_e32 v1, v3, v2
	v_add_u32_e32 v0, v1, v0
	s_cbranch_execz .LBB7_4
	s_branch .LBB7_5
.LBB7_3:
                                        ; implicit-def: $vgpr0
	s_andn2_b64 vcc, exec, s[20:21]
	s_cbranch_vccnz .LBB7_5
.LBB7_4:
	v_mad_u64_u32 v[0:1], s[6:7], v2, v2, v[2:3]
	v_lshrrev_b32_e32 v1, 31, v0
	v_add_u32_e32 v0, v0, v1
	v_ashrrev_i32_e32 v0, 1, v0
	v_add_u32_e32 v0, v0, v3
.LBB7_5:
	s_lshl_b64 s[6:7], s[16:17], 4
	s_waitcnt lgkmcnt(0)
	s_add_u32 s15, s8, s6
	s_addc_u32 s16, s9, s7
	s_lshl_b64 s[2:3], s[2:3], 4
	s_add_u32 s10, s0, s2
	v_ashrrev_i32_e32 v1, 31, v2
	s_addc_u32 s14, s1, s3
	v_mul_lo_u32 v6, v2, s19
	v_mul_lo_u32 v1, v1, s18
	v_mad_u64_u32 v[4:5], s[2:3], v2, s18, 0
	v_add3_u32 v5, v5, v6, v1
	v_cmp_gt_i32_e64 s[0:1], s11, v2
	v_lshlrev_b64 v[4:5], 4, v[4:5]
	s_and_b64 vcc, exec, s[4:5]
	s_cbranch_vccz .LBB7_7
; %bb.6:
	v_cmp_le_i32_e32 vcc, s11, v3
	v_cmp_le_i32_e64 s[2:3], v3, v2
	s_or_b64 s[2:3], s[2:3], vcc
	s_mov_b64 s[6:7], -1
	s_and_b64 s[2:3], s[2:3], exec
	v_mov_b32_e32 v1, s16
	s_cbranch_execz .LBB7_8
	s_branch .LBB7_9
.LBB7_7:
	s_mov_b64 s[2:3], 0
	s_mov_b64 s[6:7], 0
	v_mov_b32_e32 v1, s16
.LBB7_8:
	v_cmp_lt_i32_e32 vcc, v3, v2
	s_and_b64 s[8:9], vcc, s[0:1]
	s_xor_b64 s[20:21], s[8:9], -1
	s_andn2_b64 s[6:7], s[6:7], exec
	s_and_b64 s[8:9], s[8:9], exec
	s_or_b64 s[6:7], s[6:7], s[8:9]
	s_andn2_b64 s[2:3], s[2:3], exec
	s_and_b64 s[8:9], s[20:21], exec
	s_or_b64 s[2:3], s[2:3], s[8:9]
.LBB7_9:
	v_add_co_u32_e32 v4, vcc, s15, v4
	v_addc_co_u32_e32 v5, vcc, v1, v5, vcc
	s_and_saveexec_b64 s[8:9], s[2:3]
	s_xor_b64 s[8:9], exec, s[8:9]
	s_cbranch_execz .LBB7_13
; %bb.10:
	v_cmp_eq_u32_e32 vcc, v3, v2
	v_cmp_gt_i32_e64 s[2:3], s11, v3
	s_and_b64 s[20:21], vcc, s[2:3]
	s_and_saveexec_b64 s[2:3], s[20:21]
	s_cbranch_execz .LBB7_12
; %bb.11:
	v_ashrrev_i32_e32 v6, 31, v3
	v_mul_lo_u32 v8, v3, s19
	v_mul_lo_u32 v9, v6, s18
	v_mad_u64_u32 v[6:7], s[20:21], v3, s18, 0
	v_add3_u32 v7, v7, v8, v9
	v_lshlrev_b64 v[6:7], 4, v[6:7]
	v_ashrrev_i32_e32 v1, 31, v0
	v_mov_b32_e32 v8, s16
	v_add_co_u32_e32 v6, vcc, s15, v6
	v_lshlrev_b64 v[10:11], 4, v[0:1]
	v_addc_co_u32_e32 v7, vcc, v8, v7, vcc
	v_mov_b32_e32 v1, s14
	global_load_dwordx4 v[6:9], v[6:7], off
	v_add_co_u32_e32 v14, vcc, s10, v10
	v_addc_co_u32_e32 v15, vcc, v1, v11, vcc
	global_load_dwordx2 v[10:11], v[14:15], off
	v_mov_b32_e32 v12, 0
	v_mov_b32_e32 v13, v12
	s_waitcnt vmcnt(1)
	v_mul_f64 v[8:9], v[8:9], v[8:9]
	v_fmac_f64_e32 v[8:9], v[6:7], v[6:7]
	s_waitcnt vmcnt(0)
	v_fmac_f64_e32 v[10:11], s[12:13], v[8:9]
	global_store_dwordx4 v[14:15], v[10:13], off
.LBB7_12:
	s_or_b64 exec, exec, s[2:3]
	s_andn2_b64 s[6:7], s[6:7], exec
.LBB7_13:
	s_or_b64 exec, exec, s[8:9]
	v_ashrrev_i32_e32 v1, 31, v0
	s_and_saveexec_b64 s[2:3], s[6:7]
	s_cbranch_execz .LBB7_15
; %bb.14:
	v_ashrrev_i32_e32 v6, 31, v3
	v_mul_lo_u32 v8, v3, s19
	v_mul_lo_u32 v9, v6, s18
	v_mad_u64_u32 v[6:7], s[6:7], v3, s18, 0
	v_add3_u32 v7, v7, v8, v9
	v_lshlrev_b64 v[6:7], 4, v[6:7]
	v_mov_b32_e32 v8, s16
	v_add_co_u32_e32 v14, vcc, s15, v6
	v_addc_co_u32_e32 v15, vcc, v8, v7, vcc
	global_load_dwordx4 v[6:9], v[14:15], off
	global_load_dwordx4 v[10:13], v[4:5], off
	v_lshlrev_b64 v[14:15], 4, v[0:1]
	v_mov_b32_e32 v16, s14
	v_add_co_u32_e32 v18, vcc, s10, v14
	v_addc_co_u32_e32 v19, vcc, v16, v15, vcc
	global_load_dwordx4 v[14:17], v[18:19], off
	s_waitcnt vmcnt(2)
	v_mul_f64 v[6:7], v[6:7], s[12:13]
	v_mul_f64 v[8:9], v[8:9], s[12:13]
	s_waitcnt vmcnt(1)
	v_mul_f64 v[20:21], v[8:9], v[12:13]
	v_mul_f64 v[12:13], v[6:7], v[12:13]
	v_fmac_f64_e32 v[20:21], v[6:7], v[10:11]
	v_fma_f64 v[8:9], v[8:9], v[10:11], -v[12:13]
	s_waitcnt vmcnt(0)
	v_add_f64 v[6:7], v[14:15], v[20:21]
	v_add_f64 v[8:9], v[16:17], v[8:9]
	global_store_dwordx4 v[18:19], v[6:9], off
.LBB7_15:
	s_or_b64 exec, exec, s[2:3]
	v_add_u32_e32 v3, 64, v3
	s_andn2_b64 vcc, exec, s[4:5]
	v_cmp_gt_i32_e64 s[2:3], s11, v3
	s_cbranch_vccnz .LBB7_17
; %bb.16:
	v_cmp_lt_i32_e32 vcc, v2, v3
	s_and_b64 s[2:3], s[2:3], vcc
	s_xor_b64 s[6:7], s[2:3], -1
	s_and_b64 s[2:3], s[2:3], exec
	s_and_b64 s[6:7], s[6:7], exec
	s_cbranch_execz .LBB7_18
	s_branch .LBB7_19
.LBB7_17:
	s_mov_b64 s[6:7], 0
	s_mov_b64 s[2:3], 0
.LBB7_18:
	v_cmp_ge_i32_e32 vcc, v3, v2
	s_xor_b64 s[0:1], s[0:1], -1
	s_or_b64 s[0:1], s[0:1], vcc
	s_andn2_b64 s[4:5], s[6:7], exec
	s_and_b64 s[0:1], s[0:1], exec
	s_or_b64 s[2:3], s[2:3], exec
	s_or_b64 s[6:7], s[4:5], s[0:1]
.LBB7_19:
	s_and_saveexec_b64 s[4:5], s[6:7]
	s_cbranch_execnz .LBB7_23
; %bb.20:
	s_or_b64 exec, exec, s[4:5]
	s_and_saveexec_b64 s[0:1], s[2:3]
	s_cbranch_execz .LBB7_22
.LBB7_21:
	v_ashrrev_i32_e32 v2, 31, v3
	v_mul_lo_u32 v6, v3, s19
	v_mul_lo_u32 v7, v2, s18
	v_mad_u64_u32 v[2:3], s[0:1], v3, s18, 0
	v_add3_u32 v3, v3, v6, v7
	v_lshlrev_b64 v[2:3], 4, v[2:3]
	v_mov_b32_e32 v6, s16
	v_add_co_u32_e32 v2, vcc, s15, v2
	v_addc_co_u32_e32 v3, vcc, v6, v3, vcc
	v_lshlrev_b64 v[0:1], 4, v[0:1]
	global_load_dwordx4 v[6:9], v[2:3], off
	global_load_dwordx4 v[10:13], v[4:5], off
	v_mov_b32_e32 v2, s14
	v_add_co_u32_e32 v4, vcc, s10, v0
	v_addc_co_u32_e32 v5, vcc, v2, v1, vcc
	global_load_dwordx4 v[0:3], v[4:5], off offset:1024
	s_waitcnt vmcnt(2)
	v_mul_f64 v[6:7], v[6:7], s[12:13]
	v_mul_f64 v[8:9], v[8:9], s[12:13]
	s_waitcnt vmcnt(1)
	v_mul_f64 v[14:15], v[8:9], v[12:13]
	v_mul_f64 v[12:13], v[6:7], v[12:13]
	v_fmac_f64_e32 v[14:15], v[6:7], v[10:11]
	v_fma_f64 v[6:7], v[8:9], v[10:11], -v[12:13]
	s_waitcnt vmcnt(0)
	v_add_f64 v[0:1], v[0:1], v[14:15]
	v_add_f64 v[2:3], v[2:3], v[6:7]
	global_store_dwordx4 v[4:5], v[0:3], off offset:1024
.LBB7_22:
	s_endpgm
.LBB7_23:
	v_cmp_eq_u32_e32 vcc, v3, v2
	v_cmp_gt_i32_e64 s[0:1], s11, v3
	s_and_b64 s[6:7], vcc, s[0:1]
	s_and_saveexec_b64 s[0:1], s[6:7]
	s_cbranch_execz .LBB7_25
; %bb.24:
	v_lshlrev_b64 v[10:11], 4, v[0:1]
	v_mov_b32_e32 v2, s14
	global_load_dwordx4 v[6:9], v[4:5], off
	v_add_co_u32_e32 v14, vcc, s10, v10
	v_addc_co_u32_e32 v15, vcc, v2, v11, vcc
	global_load_dwordx2 v[10:11], v[14:15], off offset:1024
	v_mov_b32_e32 v12, 0
	v_mov_b32_e32 v13, v12
	s_waitcnt vmcnt(1)
	v_mul_f64 v[8:9], v[8:9], v[8:9]
	v_fmac_f64_e32 v[8:9], v[6:7], v[6:7]
	s_waitcnt vmcnt(0)
	v_fmac_f64_e32 v[10:11], s[12:13], v[8:9]
	global_store_dwordx4 v[14:15], v[10:13], off offset:1024
.LBB7_25:
	s_or_b64 exec, exec, s[0:1]
	s_andn2_b64 s[2:3], s[2:3], exec
	s_or_b64 exec, exec, s[4:5]
	s_and_saveexec_b64 s[0:1], s[2:3]
	s_cbranch_execnz .LBB7_21
	s_branch .LBB7_22
	.section	.rodata,"a",@progbits
	.p2align	6, 0x0
	.amdhsa_kernel _ZL18rocblas_hpr_kernelILi64ELi16ELi2EdPKPK19rocblas_complex_numIdEPKPS1_EvbiT2_T3_lllT4_lli
		.amdhsa_group_segment_fixed_size 0
		.amdhsa_private_segment_fixed_size 0
		.amdhsa_kernarg_size 76
		.amdhsa_user_sgpr_count 6
		.amdhsa_user_sgpr_private_segment_buffer 1
		.amdhsa_user_sgpr_dispatch_ptr 0
		.amdhsa_user_sgpr_queue_ptr 0
		.amdhsa_user_sgpr_kernarg_segment_ptr 1
		.amdhsa_user_sgpr_dispatch_id 0
		.amdhsa_user_sgpr_flat_scratch_init 0
		.amdhsa_user_sgpr_kernarg_preload_length 0
		.amdhsa_user_sgpr_kernarg_preload_offset 0
		.amdhsa_user_sgpr_private_segment_size 0
		.amdhsa_uses_dynamic_stack 0
		.amdhsa_system_sgpr_private_segment_wavefront_offset 0
		.amdhsa_system_sgpr_workgroup_id_x 1
		.amdhsa_system_sgpr_workgroup_id_y 1
		.amdhsa_system_sgpr_workgroup_id_z 1
		.amdhsa_system_sgpr_workgroup_info 0
		.amdhsa_system_vgpr_workitem_id 1
		.amdhsa_next_free_vgpr 22
		.amdhsa_next_free_sgpr 24
		.amdhsa_accum_offset 24
		.amdhsa_reserve_vcc 1
		.amdhsa_reserve_flat_scratch 0
		.amdhsa_float_round_mode_32 0
		.amdhsa_float_round_mode_16_64 0
		.amdhsa_float_denorm_mode_32 3
		.amdhsa_float_denorm_mode_16_64 3
		.amdhsa_dx10_clamp 1
		.amdhsa_ieee_mode 1
		.amdhsa_fp16_overflow 0
		.amdhsa_tg_split 0
		.amdhsa_exception_fp_ieee_invalid_op 0
		.amdhsa_exception_fp_denorm_src 0
		.amdhsa_exception_fp_ieee_div_zero 0
		.amdhsa_exception_fp_ieee_overflow 0
		.amdhsa_exception_fp_ieee_underflow 0
		.amdhsa_exception_fp_ieee_inexact 0
		.amdhsa_exception_int_div_zero 0
	.end_amdhsa_kernel
	.section	.text._ZL18rocblas_hpr_kernelILi64ELi16ELi2EdPKPK19rocblas_complex_numIdEPKPS1_EvbiT2_T3_lllT4_lli,"axG",@progbits,_ZL18rocblas_hpr_kernelILi64ELi16ELi2EdPKPK19rocblas_complex_numIdEPKPS1_EvbiT2_T3_lllT4_lli,comdat
.Lfunc_end7:
	.size	_ZL18rocblas_hpr_kernelILi64ELi16ELi2EdPKPK19rocblas_complex_numIdEPKPS1_EvbiT2_T3_lllT4_lli, .Lfunc_end7-_ZL18rocblas_hpr_kernelILi64ELi16ELi2EdPKPK19rocblas_complex_numIdEPKPS1_EvbiT2_T3_lllT4_lli
                                        ; -- End function
	.section	.AMDGPU.csdata,"",@progbits
; Kernel info:
; codeLenInByte = 1192
; NumSgprs: 28
; NumVgprs: 22
; NumAgprs: 0
; TotalNumVgprs: 22
; ScratchSize: 0
; MemoryBound: 0
; FloatMode: 240
; IeeeMode: 1
; LDSByteSize: 0 bytes/workgroup (compile time only)
; SGPRBlocks: 3
; VGPRBlocks: 2
; NumSGPRsForWavesPerEU: 28
; NumVGPRsForWavesPerEU: 22
; AccumOffset: 24
; Occupancy: 8
; WaveLimiterHint : 1
; COMPUTE_PGM_RSRC2:SCRATCH_EN: 0
; COMPUTE_PGM_RSRC2:USER_SGPR: 6
; COMPUTE_PGM_RSRC2:TRAP_HANDLER: 0
; COMPUTE_PGM_RSRC2:TGID_X_EN: 1
; COMPUTE_PGM_RSRC2:TGID_Y_EN: 1
; COMPUTE_PGM_RSRC2:TGID_Z_EN: 1
; COMPUTE_PGM_RSRC2:TIDIG_COMP_CNT: 1
; COMPUTE_PGM_RSRC3_GFX90A:ACCUM_OFFSET: 5
; COMPUTE_PGM_RSRC3_GFX90A:TG_SPLIT: 0
	.text
	.p2alignl 6, 3212836864
	.fill 256, 4, 3212836864
	.type	__hip_cuid_5403804ad77003da,@object ; @__hip_cuid_5403804ad77003da
	.section	.bss,"aw",@nobits
	.globl	__hip_cuid_5403804ad77003da
__hip_cuid_5403804ad77003da:
	.byte	0                               ; 0x0
	.size	__hip_cuid_5403804ad77003da, 1

	.ident	"AMD clang version 19.0.0git (https://github.com/RadeonOpenCompute/llvm-project roc-6.4.0 25133 c7fe45cf4b819c5991fe208aaa96edf142730f1d)"
	.section	".note.GNU-stack","",@progbits
	.addrsig
	.addrsig_sym __hip_cuid_5403804ad77003da
	.amdgpu_metadata
---
amdhsa.kernels:
  - .agpr_count:     0
    .args:
      - .offset:         0
        .size:           1
        .value_kind:     by_value
      - .offset:         4
        .size:           4
        .value_kind:     by_value
      - .address_space:  global
        .offset:         8
        .size:           8
        .value_kind:     global_buffer
      - .address_space:  global
        .offset:         16
        .size:           8
        .value_kind:     global_buffer
      - .offset:         24
        .size:           8
        .value_kind:     by_value
      - .offset:         32
        .size:           8
        .value_kind:     by_value
      - .offset:         40
        .size:           8
        .value_kind:     by_value
      - .address_space:  global
        .offset:         48
        .size:           8
        .value_kind:     global_buffer
      - .offset:         56
        .size:           8
        .value_kind:     by_value
      - .offset:         64
        .size:           8
        .value_kind:     by_value
      - .offset:         72
        .size:           4
        .value_kind:     by_value
    .group_segment_fixed_size: 0
    .kernarg_segment_align: 8
    .kernarg_segment_size: 76
    .language:       OpenCL C
    .language_version:
      - 2
      - 0
    .max_flat_workgroup_size: 1024
    .name:           _ZL18rocblas_hpr_kernelILi64ELi16ELi2EPKfPK19rocblas_complex_numIfEPS3_EvbiT2_T3_lllT4_lli
    .private_segment_fixed_size: 0
    .sgpr_count:     32
    .sgpr_spill_count: 0
    .symbol:         _ZL18rocblas_hpr_kernelILi64ELi16ELi2EPKfPK19rocblas_complex_numIfEPS3_EvbiT2_T3_lllT4_lli.kd
    .uniform_work_group_size: 1
    .uses_dynamic_stack: false
    .vgpr_count:     18
    .vgpr_spill_count: 0
    .wavefront_size: 64
  - .agpr_count:     0
    .args:
      - .offset:         0
        .size:           1
        .value_kind:     by_value
      - .offset:         4
        .size:           4
        .value_kind:     by_value
      - .offset:         8
        .size:           4
        .value_kind:     by_value
      - .address_space:  global
        .offset:         16
        .size:           8
        .value_kind:     global_buffer
      - .offset:         24
        .size:           8
        .value_kind:     by_value
      - .offset:         32
        .size:           8
        .value_kind:     by_value
      - .offset:         40
        .size:           8
        .value_kind:     by_value
      - .address_space:  global
        .offset:         48
        .size:           8
        .value_kind:     global_buffer
      - .offset:         56
        .size:           8
        .value_kind:     by_value
      - .offset:         64
        .size:           8
        .value_kind:     by_value
      - .offset:         72
        .size:           4
        .value_kind:     by_value
    .group_segment_fixed_size: 0
    .kernarg_segment_align: 8
    .kernarg_segment_size: 76
    .language:       OpenCL C
    .language_version:
      - 2
      - 0
    .max_flat_workgroup_size: 1024
    .name:           _ZL18rocblas_hpr_kernelILi64ELi16ELi2EfPK19rocblas_complex_numIfEPS1_EvbiT2_T3_lllT4_lli
    .private_segment_fixed_size: 0
    .sgpr_count:     36
    .sgpr_spill_count: 0
    .symbol:         _ZL18rocblas_hpr_kernelILi64ELi16ELi2EfPK19rocblas_complex_numIfEPS1_EvbiT2_T3_lllT4_lli.kd
    .uniform_work_group_size: 1
    .uses_dynamic_stack: false
    .vgpr_count:     18
    .vgpr_spill_count: 0
    .wavefront_size: 64
  - .agpr_count:     0
    .args:
      - .offset:         0
        .size:           1
        .value_kind:     by_value
      - .offset:         4
        .size:           4
        .value_kind:     by_value
      - .address_space:  global
        .offset:         8
        .size:           8
        .value_kind:     global_buffer
      - .address_space:  global
        .offset:         16
        .size:           8
        .value_kind:     global_buffer
      - .offset:         24
        .size:           8
        .value_kind:     by_value
      - .offset:         32
        .size:           8
        .value_kind:     by_value
      - .offset:         40
        .size:           8
        .value_kind:     by_value
      - .address_space:  global
        .offset:         48
        .size:           8
        .value_kind:     global_buffer
      - .offset:         56
        .size:           8
        .value_kind:     by_value
      - .offset:         64
        .size:           8
        .value_kind:     by_value
      - .offset:         72
        .size:           4
        .value_kind:     by_value
    .group_segment_fixed_size: 0
    .kernarg_segment_align: 8
    .kernarg_segment_size: 76
    .language:       OpenCL C
    .language_version:
      - 2
      - 0
    .max_flat_workgroup_size: 1024
    .name:           _ZL18rocblas_hpr_kernelILi64ELi16ELi2EPKdPK19rocblas_complex_numIdEPS3_EvbiT2_T3_lllT4_lli
    .private_segment_fixed_size: 0
    .sgpr_count:     32
    .sgpr_spill_count: 0
    .symbol:         _ZL18rocblas_hpr_kernelILi64ELi16ELi2EPKdPK19rocblas_complex_numIdEPS3_EvbiT2_T3_lllT4_lli.kd
    .uniform_work_group_size: 1
    .uses_dynamic_stack: false
    .vgpr_count:     22
    .vgpr_spill_count: 0
    .wavefront_size: 64
  - .agpr_count:     0
    .args:
      - .offset:         0
        .size:           1
        .value_kind:     by_value
      - .offset:         4
        .size:           4
        .value_kind:     by_value
      - .offset:         8
        .size:           8
        .value_kind:     by_value
      - .address_space:  global
        .offset:         16
        .size:           8
        .value_kind:     global_buffer
      - .offset:         24
        .size:           8
        .value_kind:     by_value
      - .offset:         32
        .size:           8
        .value_kind:     by_value
      - .offset:         40
        .size:           8
        .value_kind:     by_value
      - .address_space:  global
        .offset:         48
        .size:           8
        .value_kind:     global_buffer
      - .offset:         56
        .size:           8
        .value_kind:     by_value
      - .offset:         64
        .size:           8
        .value_kind:     by_value
      - .offset:         72
        .size:           4
        .value_kind:     by_value
    .group_segment_fixed_size: 0
    .kernarg_segment_align: 8
    .kernarg_segment_size: 76
    .language:       OpenCL C
    .language_version:
      - 2
      - 0
    .max_flat_workgroup_size: 1024
    .name:           _ZL18rocblas_hpr_kernelILi64ELi16ELi2EdPK19rocblas_complex_numIdEPS1_EvbiT2_T3_lllT4_lli
    .private_segment_fixed_size: 0
    .sgpr_count:     32
    .sgpr_spill_count: 0
    .symbol:         _ZL18rocblas_hpr_kernelILi64ELi16ELi2EdPK19rocblas_complex_numIdEPS1_EvbiT2_T3_lllT4_lli.kd
    .uniform_work_group_size: 1
    .uses_dynamic_stack: false
    .vgpr_count:     22
    .vgpr_spill_count: 0
    .wavefront_size: 64
  - .agpr_count:     0
    .args:
      - .offset:         0
        .size:           1
        .value_kind:     by_value
      - .offset:         4
        .size:           4
        .value_kind:     by_value
      - .address_space:  global
        .offset:         8
        .size:           8
        .value_kind:     global_buffer
      - .address_space:  global
        .offset:         16
        .size:           8
        .value_kind:     global_buffer
      - .offset:         24
        .size:           8
        .value_kind:     by_value
      - .offset:         32
        .size:           8
        .value_kind:     by_value
      - .offset:         40
        .size:           8
        .value_kind:     by_value
      - .address_space:  global
        .offset:         48
        .size:           8
        .value_kind:     global_buffer
      - .offset:         56
        .size:           8
        .value_kind:     by_value
      - .offset:         64
        .size:           8
        .value_kind:     by_value
      - .offset:         72
        .size:           4
        .value_kind:     by_value
    .group_segment_fixed_size: 0
    .kernarg_segment_align: 8
    .kernarg_segment_size: 76
    .language:       OpenCL C
    .language_version:
      - 2
      - 0
    .max_flat_workgroup_size: 1024
    .name:           _ZL18rocblas_hpr_kernelILi64ELi16ELi2EPKfPKPK19rocblas_complex_numIfEPKPS3_EvbiT2_T3_lllT4_lli
    .private_segment_fixed_size: 0
    .sgpr_count:     28
    .sgpr_spill_count: 0
    .symbol:         _ZL18rocblas_hpr_kernelILi64ELi16ELi2EPKfPKPK19rocblas_complex_numIfEPKPS3_EvbiT2_T3_lllT4_lli.kd
    .uniform_work_group_size: 1
    .uses_dynamic_stack: false
    .vgpr_count:     18
    .vgpr_spill_count: 0
    .wavefront_size: 64
  - .agpr_count:     0
    .args:
      - .offset:         0
        .size:           1
        .value_kind:     by_value
      - .offset:         4
        .size:           4
        .value_kind:     by_value
      - .offset:         8
        .size:           4
        .value_kind:     by_value
      - .address_space:  global
        .offset:         16
        .size:           8
        .value_kind:     global_buffer
      - .offset:         24
        .size:           8
        .value_kind:     by_value
      - .offset:         32
        .size:           8
        .value_kind:     by_value
      - .offset:         40
        .size:           8
        .value_kind:     by_value
      - .address_space:  global
        .offset:         48
        .size:           8
        .value_kind:     global_buffer
      - .offset:         56
        .size:           8
        .value_kind:     by_value
      - .offset:         64
        .size:           8
        .value_kind:     by_value
      - .offset:         72
        .size:           4
        .value_kind:     by_value
    .group_segment_fixed_size: 0
    .kernarg_segment_align: 8
    .kernarg_segment_size: 76
    .language:       OpenCL C
    .language_version:
      - 2
      - 0
    .max_flat_workgroup_size: 1024
    .name:           _ZL18rocblas_hpr_kernelILi64ELi16ELi2EfPKPK19rocblas_complex_numIfEPKPS1_EvbiT2_T3_lllT4_lli
    .private_segment_fixed_size: 0
    .sgpr_count:     28
    .sgpr_spill_count: 0
    .symbol:         _ZL18rocblas_hpr_kernelILi64ELi16ELi2EfPKPK19rocblas_complex_numIfEPKPS1_EvbiT2_T3_lllT4_lli.kd
    .uniform_work_group_size: 1
    .uses_dynamic_stack: false
    .vgpr_count:     18
    .vgpr_spill_count: 0
    .wavefront_size: 64
  - .agpr_count:     0
    .args:
      - .offset:         0
        .size:           1
        .value_kind:     by_value
      - .offset:         4
        .size:           4
        .value_kind:     by_value
      - .address_space:  global
        .offset:         8
        .size:           8
        .value_kind:     global_buffer
      - .address_space:  global
        .offset:         16
        .size:           8
        .value_kind:     global_buffer
      - .offset:         24
        .size:           8
        .value_kind:     by_value
      - .offset:         32
        .size:           8
        .value_kind:     by_value
      - .offset:         40
        .size:           8
        .value_kind:     by_value
      - .address_space:  global
        .offset:         48
        .size:           8
        .value_kind:     global_buffer
      - .offset:         56
        .size:           8
        .value_kind:     by_value
      - .offset:         64
        .size:           8
        .value_kind:     by_value
      - .offset:         72
        .size:           4
        .value_kind:     by_value
    .group_segment_fixed_size: 0
    .kernarg_segment_align: 8
    .kernarg_segment_size: 76
    .language:       OpenCL C
    .language_version:
      - 2
      - 0
    .max_flat_workgroup_size: 1024
    .name:           _ZL18rocblas_hpr_kernelILi64ELi16ELi2EPKdPKPK19rocblas_complex_numIdEPKPS3_EvbiT2_T3_lllT4_lli
    .private_segment_fixed_size: 0
    .sgpr_count:     28
    .sgpr_spill_count: 0
    .symbol:         _ZL18rocblas_hpr_kernelILi64ELi16ELi2EPKdPKPK19rocblas_complex_numIdEPKPS3_EvbiT2_T3_lllT4_lli.kd
    .uniform_work_group_size: 1
    .uses_dynamic_stack: false
    .vgpr_count:     22
    .vgpr_spill_count: 0
    .wavefront_size: 64
  - .agpr_count:     0
    .args:
      - .offset:         0
        .size:           1
        .value_kind:     by_value
      - .offset:         4
        .size:           4
        .value_kind:     by_value
      - .offset:         8
        .size:           8
        .value_kind:     by_value
      - .address_space:  global
        .offset:         16
        .size:           8
        .value_kind:     global_buffer
      - .offset:         24
        .size:           8
        .value_kind:     by_value
      - .offset:         32
        .size:           8
        .value_kind:     by_value
      - .offset:         40
        .size:           8
        .value_kind:     by_value
      - .address_space:  global
        .offset:         48
        .size:           8
        .value_kind:     global_buffer
      - .offset:         56
        .size:           8
        .value_kind:     by_value
      - .offset:         64
        .size:           8
        .value_kind:     by_value
      - .offset:         72
        .size:           4
        .value_kind:     by_value
    .group_segment_fixed_size: 0
    .kernarg_segment_align: 8
    .kernarg_segment_size: 76
    .language:       OpenCL C
    .language_version:
      - 2
      - 0
    .max_flat_workgroup_size: 1024
    .name:           _ZL18rocblas_hpr_kernelILi64ELi16ELi2EdPKPK19rocblas_complex_numIdEPKPS1_EvbiT2_T3_lllT4_lli
    .private_segment_fixed_size: 0
    .sgpr_count:     28
    .sgpr_spill_count: 0
    .symbol:         _ZL18rocblas_hpr_kernelILi64ELi16ELi2EdPKPK19rocblas_complex_numIdEPKPS1_EvbiT2_T3_lllT4_lli.kd
    .uniform_work_group_size: 1
    .uses_dynamic_stack: false
    .vgpr_count:     22
    .vgpr_spill_count: 0
    .wavefront_size: 64
amdhsa.target:   amdgcn-amd-amdhsa--gfx90a
amdhsa.version:
  - 1
  - 2
...

	.end_amdgpu_metadata
